;; amdgpu-corpus repo=ROCm/rocFFT kind=compiled arch=gfx1030 opt=O3
	.text
	.amdgcn_target "amdgcn-amd-amdhsa--gfx1030"
	.amdhsa_code_object_version 6
	.protected	fft_rtc_fwd_len3240_factors_3_3_10_6_6_wgs_108_tpt_108_halfLds_sp_op_CI_CI_sbrr_dirReg ; -- Begin function fft_rtc_fwd_len3240_factors_3_3_10_6_6_wgs_108_tpt_108_halfLds_sp_op_CI_CI_sbrr_dirReg
	.globl	fft_rtc_fwd_len3240_factors_3_3_10_6_6_wgs_108_tpt_108_halfLds_sp_op_CI_CI_sbrr_dirReg
	.p2align	8
	.type	fft_rtc_fwd_len3240_factors_3_3_10_6_6_wgs_108_tpt_108_halfLds_sp_op_CI_CI_sbrr_dirReg,@function
fft_rtc_fwd_len3240_factors_3_3_10_6_6_wgs_108_tpt_108_halfLds_sp_op_CI_CI_sbrr_dirReg: ; @fft_rtc_fwd_len3240_factors_3_3_10_6_6_wgs_108_tpt_108_halfLds_sp_op_CI_CI_sbrr_dirReg
; %bb.0:
	s_clause 0x2
	s_load_dwordx4 s[16:19], s[4:5], 0x18
	s_load_dwordx4 s[12:15], s[4:5], 0x0
	;; [unrolled: 1-line block ×3, first 2 shown]
	v_mul_u32_u24_e32 v1, 0x25f, v0
	v_mov_b32_e32 v5, 0
	v_mov_b32_e32 v7, 0
	;; [unrolled: 1-line block ×3, first 2 shown]
	s_waitcnt lgkmcnt(0)
	s_load_dwordx2 s[20:21], s[16:17], 0x0
	s_load_dwordx2 s[2:3], s[18:19], 0x0
	v_cmp_lt_u64_e64 s0, s[14:15], 2
	v_add_nc_u32_sdwa v9, s6, v1 dst_sel:DWORD dst_unused:UNUSED_PAD src0_sel:DWORD src1_sel:WORD_1
	v_mov_b32_e32 v10, v5
	s_and_b32 vcc_lo, exec_lo, s0
	s_cbranch_vccnz .LBB0_8
; %bb.1:
	s_load_dwordx2 s[0:1], s[4:5], 0x10
	v_mov_b32_e32 v7, 0
	v_mov_b32_e32 v8, 0
	s_add_u32 s6, s18, 8
	s_addc_u32 s7, s19, 0
	v_mov_b32_e32 v1, v7
	s_add_u32 s22, s16, 8
	v_mov_b32_e32 v2, v8
	s_addc_u32 s23, s17, 0
	s_mov_b64 s[26:27], 1
	s_waitcnt lgkmcnt(0)
	s_add_u32 s24, s0, 8
	s_addc_u32 s25, s1, 0
.LBB0_2:                                ; =>This Inner Loop Header: Depth=1
	s_load_dwordx2 s[28:29], s[24:25], 0x0
                                        ; implicit-def: $vgpr3_vgpr4
	s_mov_b32 s0, exec_lo
	s_waitcnt lgkmcnt(0)
	v_or_b32_e32 v6, s29, v10
	v_cmpx_ne_u64_e32 0, v[5:6]
	s_xor_b32 s1, exec_lo, s0
	s_cbranch_execz .LBB0_4
; %bb.3:                                ;   in Loop: Header=BB0_2 Depth=1
	v_cvt_f32_u32_e32 v3, s28
	v_cvt_f32_u32_e32 v4, s29
	s_sub_u32 s0, 0, s28
	s_subb_u32 s30, 0, s29
	v_fmac_f32_e32 v3, 0x4f800000, v4
	v_rcp_f32_e32 v3, v3
	v_mul_f32_e32 v3, 0x5f7ffffc, v3
	v_mul_f32_e32 v4, 0x2f800000, v3
	v_trunc_f32_e32 v4, v4
	v_fmac_f32_e32 v3, 0xcf800000, v4
	v_cvt_u32_f32_e32 v4, v4
	v_cvt_u32_f32_e32 v3, v3
	v_mul_lo_u32 v6, s0, v4
	v_mul_hi_u32 v11, s0, v3
	v_mul_lo_u32 v12, s30, v3
	v_add_nc_u32_e32 v6, v11, v6
	v_mul_lo_u32 v11, s0, v3
	v_add_nc_u32_e32 v6, v6, v12
	v_mul_hi_u32 v12, v3, v11
	v_mul_lo_u32 v13, v3, v6
	v_mul_hi_u32 v14, v3, v6
	v_mul_hi_u32 v15, v4, v11
	v_mul_lo_u32 v11, v4, v11
	v_mul_hi_u32 v16, v4, v6
	v_mul_lo_u32 v6, v4, v6
	v_add_co_u32 v12, vcc_lo, v12, v13
	v_add_co_ci_u32_e32 v13, vcc_lo, 0, v14, vcc_lo
	v_add_co_u32 v11, vcc_lo, v12, v11
	v_add_co_ci_u32_e32 v11, vcc_lo, v13, v15, vcc_lo
	v_add_co_ci_u32_e32 v12, vcc_lo, 0, v16, vcc_lo
	v_add_co_u32 v6, vcc_lo, v11, v6
	v_add_co_ci_u32_e32 v11, vcc_lo, 0, v12, vcc_lo
	v_add_co_u32 v3, vcc_lo, v3, v6
	v_add_co_ci_u32_e32 v4, vcc_lo, v4, v11, vcc_lo
	v_mul_hi_u32 v6, s0, v3
	v_mul_lo_u32 v12, s30, v3
	v_mul_lo_u32 v11, s0, v4
	v_add_nc_u32_e32 v6, v6, v11
	v_mul_lo_u32 v11, s0, v3
	v_add_nc_u32_e32 v6, v6, v12
	v_mul_hi_u32 v12, v3, v11
	v_mul_lo_u32 v13, v3, v6
	v_mul_hi_u32 v14, v3, v6
	v_mul_hi_u32 v15, v4, v11
	v_mul_lo_u32 v11, v4, v11
	v_mul_hi_u32 v16, v4, v6
	v_mul_lo_u32 v6, v4, v6
	v_add_co_u32 v12, vcc_lo, v12, v13
	v_add_co_ci_u32_e32 v13, vcc_lo, 0, v14, vcc_lo
	v_add_co_u32 v11, vcc_lo, v12, v11
	v_add_co_ci_u32_e32 v11, vcc_lo, v13, v15, vcc_lo
	v_add_co_ci_u32_e32 v12, vcc_lo, 0, v16, vcc_lo
	v_add_co_u32 v6, vcc_lo, v11, v6
	v_add_co_ci_u32_e32 v11, vcc_lo, 0, v12, vcc_lo
	v_add_co_u32 v6, vcc_lo, v3, v6
	v_add_co_ci_u32_e32 v13, vcc_lo, v4, v11, vcc_lo
	v_mul_hi_u32 v15, v9, v6
	v_mad_u64_u32 v[11:12], null, v10, v6, 0
	v_mad_u64_u32 v[3:4], null, v9, v13, 0
	v_mad_u64_u32 v[13:14], null, v10, v13, 0
	v_add_co_u32 v3, vcc_lo, v15, v3
	v_add_co_ci_u32_e32 v4, vcc_lo, 0, v4, vcc_lo
	v_add_co_u32 v3, vcc_lo, v3, v11
	v_add_co_ci_u32_e32 v3, vcc_lo, v4, v12, vcc_lo
	v_add_co_ci_u32_e32 v4, vcc_lo, 0, v14, vcc_lo
	v_add_co_u32 v6, vcc_lo, v3, v13
	v_add_co_ci_u32_e32 v11, vcc_lo, 0, v4, vcc_lo
	v_mul_lo_u32 v12, s29, v6
	v_mad_u64_u32 v[3:4], null, s28, v6, 0
	v_mul_lo_u32 v13, s28, v11
	v_sub_co_u32 v3, vcc_lo, v9, v3
	v_add3_u32 v4, v4, v13, v12
	v_sub_nc_u32_e32 v12, v10, v4
	v_subrev_co_ci_u32_e64 v12, s0, s29, v12, vcc_lo
	v_add_co_u32 v13, s0, v6, 2
	v_add_co_ci_u32_e64 v14, s0, 0, v11, s0
	v_sub_co_u32 v15, s0, v3, s28
	v_sub_co_ci_u32_e32 v4, vcc_lo, v10, v4, vcc_lo
	v_subrev_co_ci_u32_e64 v12, s0, 0, v12, s0
	v_cmp_le_u32_e32 vcc_lo, s28, v15
	v_cmp_eq_u32_e64 s0, s29, v4
	v_cndmask_b32_e64 v15, 0, -1, vcc_lo
	v_cmp_le_u32_e32 vcc_lo, s29, v12
	v_cndmask_b32_e64 v16, 0, -1, vcc_lo
	v_cmp_le_u32_e32 vcc_lo, s28, v3
	;; [unrolled: 2-line block ×3, first 2 shown]
	v_cndmask_b32_e64 v17, 0, -1, vcc_lo
	v_cmp_eq_u32_e32 vcc_lo, s29, v12
	v_cndmask_b32_e64 v3, v17, v3, s0
	v_cndmask_b32_e32 v12, v16, v15, vcc_lo
	v_add_co_u32 v15, vcc_lo, v6, 1
	v_add_co_ci_u32_e32 v16, vcc_lo, 0, v11, vcc_lo
	v_cmp_ne_u32_e32 vcc_lo, 0, v12
	v_cndmask_b32_e32 v4, v16, v14, vcc_lo
	v_cndmask_b32_e32 v12, v15, v13, vcc_lo
	v_cmp_ne_u32_e32 vcc_lo, 0, v3
	v_cndmask_b32_e32 v4, v11, v4, vcc_lo
	v_cndmask_b32_e32 v3, v6, v12, vcc_lo
.LBB0_4:                                ;   in Loop: Header=BB0_2 Depth=1
	s_andn2_saveexec_b32 s0, s1
	s_cbranch_execz .LBB0_6
; %bb.5:                                ;   in Loop: Header=BB0_2 Depth=1
	v_cvt_f32_u32_e32 v3, s28
	s_sub_i32 s1, 0, s28
	v_rcp_iflag_f32_e32 v3, v3
	v_mul_f32_e32 v3, 0x4f7ffffe, v3
	v_cvt_u32_f32_e32 v3, v3
	v_mul_lo_u32 v4, s1, v3
	v_mul_hi_u32 v4, v3, v4
	v_add_nc_u32_e32 v3, v3, v4
	v_mul_hi_u32 v3, v9, v3
	v_mul_lo_u32 v4, v3, s28
	v_add_nc_u32_e32 v6, 1, v3
	v_sub_nc_u32_e32 v4, v9, v4
	v_subrev_nc_u32_e32 v11, s28, v4
	v_cmp_le_u32_e32 vcc_lo, s28, v4
	v_cndmask_b32_e32 v4, v4, v11, vcc_lo
	v_cndmask_b32_e32 v3, v3, v6, vcc_lo
	v_cmp_le_u32_e32 vcc_lo, s28, v4
	v_add_nc_u32_e32 v6, 1, v3
	v_mov_b32_e32 v4, v5
	v_cndmask_b32_e32 v3, v3, v6, vcc_lo
.LBB0_6:                                ;   in Loop: Header=BB0_2 Depth=1
	s_or_b32 exec_lo, exec_lo, s0
	v_mul_lo_u32 v6, v4, s28
	v_mul_lo_u32 v13, v3, s29
	s_load_dwordx2 s[0:1], s[22:23], 0x0
	v_mad_u64_u32 v[11:12], null, v3, s28, 0
	s_load_dwordx2 s[28:29], s[6:7], 0x0
	s_add_u32 s26, s26, 1
	s_addc_u32 s27, s27, 0
	s_add_u32 s6, s6, 8
	s_addc_u32 s7, s7, 0
	s_add_u32 s22, s22, 8
	v_add3_u32 v6, v12, v13, v6
	v_sub_co_u32 v9, vcc_lo, v9, v11
	s_addc_u32 s23, s23, 0
	s_add_u32 s24, s24, 8
	v_sub_co_ci_u32_e32 v6, vcc_lo, v10, v6, vcc_lo
	s_addc_u32 s25, s25, 0
	s_waitcnt lgkmcnt(0)
	v_mul_lo_u32 v10, s0, v6
	v_mul_lo_u32 v11, s1, v9
	v_mad_u64_u32 v[7:8], null, s0, v9, v[7:8]
	v_mul_lo_u32 v6, s28, v6
	v_mul_lo_u32 v12, s29, v9
	v_mad_u64_u32 v[1:2], null, s28, v9, v[1:2]
	v_cmp_ge_u64_e64 s0, s[26:27], s[14:15]
	v_add3_u32 v8, v11, v8, v10
	v_add3_u32 v2, v12, v2, v6
	s_and_b32 vcc_lo, exec_lo, s0
	s_cbranch_vccnz .LBB0_9
; %bb.7:                                ;   in Loop: Header=BB0_2 Depth=1
	v_mov_b32_e32 v10, v4
	v_mov_b32_e32 v9, v3
	s_branch .LBB0_2
.LBB0_8:
	v_mov_b32_e32 v1, v7
	v_mov_b32_e32 v3, v9
	;; [unrolled: 1-line block ×4, first 2 shown]
.LBB0_9:
	s_load_dwordx2 s[0:1], s[4:5], 0x28
	v_mul_hi_u32 v5, 0x25ed098, v0
	s_lshl_b64 s[6:7], s[14:15], 3
                                        ; implicit-def: $vgpr80
                                        ; implicit-def: $vgpr81
                                        ; implicit-def: $vgpr82
                                        ; implicit-def: $vgpr83
                                        ; implicit-def: $vgpr84
                                        ; implicit-def: $vgpr106
                                        ; implicit-def: $vgpr105
                                        ; implicit-def: $vgpr107
                                        ; implicit-def: $vgpr108
                                        ; implicit-def: $vgpr109
	s_add_u32 s4, s18, s6
	s_addc_u32 s5, s19, s7
	s_waitcnt lgkmcnt(0)
	v_cmp_gt_u64_e32 vcc_lo, s[0:1], v[3:4]
	v_cmp_le_u64_e64 s0, s[0:1], v[3:4]
	s_and_saveexec_b32 s1, s0
	s_xor_b32 s0, exec_lo, s1
; %bb.10:
	v_mul_u32_u24_e32 v5, 0x6c, v5
                                        ; implicit-def: $vgpr7_vgpr8
	v_sub_nc_u32_e32 v80, v0, v5
                                        ; implicit-def: $vgpr5
                                        ; implicit-def: $vgpr0
	v_add_nc_u32_e32 v81, 0x6c, v80
	v_add_nc_u32_e32 v82, 0xd8, v80
	;; [unrolled: 1-line block ×9, first 2 shown]
; %bb.11:
	s_or_saveexec_b32 s1, s0
                                        ; implicit-def: $vgpr11
                                        ; implicit-def: $vgpr13
                                        ; implicit-def: $vgpr6
                                        ; implicit-def: $vgpr15
                                        ; implicit-def: $vgpr17
                                        ; implicit-def: $vgpr9
                                        ; implicit-def: $vgpr23
                                        ; implicit-def: $vgpr27
                                        ; implicit-def: $vgpr19
                                        ; implicit-def: $vgpr33
                                        ; implicit-def: $vgpr35
                                        ; implicit-def: $vgpr21
                                        ; implicit-def: $vgpr37
                                        ; implicit-def: $vgpr39
                                        ; implicit-def: $vgpr25
                                        ; implicit-def: $vgpr41
                                        ; implicit-def: $vgpr43
                                        ; implicit-def: $vgpr29
                                        ; implicit-def: $vgpr45
                                        ; implicit-def: $vgpr47
                                        ; implicit-def: $vgpr31
                                        ; implicit-def: $vgpr55
                                        ; implicit-def: $vgpr61
                                        ; implicit-def: $vgpr49
                                        ; implicit-def: $vgpr59
                                        ; implicit-def: $vgpr63
                                        ; implicit-def: $vgpr51
                                        ; implicit-def: $vgpr65
                                        ; implicit-def: $vgpr57
                                        ; implicit-def: $vgpr53
	s_xor_b32 exec_lo, exec_lo, s1
	s_cbranch_execz .LBB0_13
; %bb.12:
	s_add_u32 s6, s16, s6
	s_addc_u32 s7, s17, s7
	v_mul_u32_u24_e32 v5, 0x6c, v5
	s_load_dwordx2 s[6:7], s[6:7], 0x0
	v_lshlrev_b64 v[7:8], 3, v[7:8]
	v_sub_nc_u32_e32 v80, v0, v5
	v_mad_u64_u32 v[5:6], null, s20, v80, 0
	v_add_nc_u32_e32 v18, 0x438, v80
	v_add_nc_u32_e32 v21, 0x870, v80
	;; [unrolled: 1-line block ×5, first 2 shown]
	v_mad_u64_u32 v[9:10], null, s20, v18, 0
	v_mov_b32_e32 v0, v6
	v_mad_u64_u32 v[11:12], null, s20, v21, 0
	s_waitcnt lgkmcnt(0)
	v_mul_lo_u32 v6, s7, v3
	v_mul_lo_u32 v19, s6, v4
	v_mad_u64_u32 v[13:14], null, s6, v3, 0
	v_mad_u64_u32 v[15:16], null, s21, v80, v[0:1]
	v_mov_b32_e32 v0, v10
	v_mad_u64_u32 v[16:17], null, s20, v81, 0
	v_mov_b32_e32 v10, v12
	v_add3_u32 v14, v14, v19, v6
	v_mad_u64_u32 v[18:19], null, s21, v18, v[0:1]
	v_mov_b32_e32 v6, v15
	v_mad_u64_u32 v[19:20], null, s20, v22, 0
	v_lshlrev_b64 v[12:13], 3, v[13:14]
	v_mad_u64_u32 v[14:15], null, s21, v21, v[10:11]
	v_mov_b32_e32 v15, v17
	v_mov_b32_e32 v10, v18
	v_lshlrev_b64 v[5:6], 3, v[5:6]
	v_add_co_u32 v0, s0, s8, v12
	v_add_co_ci_u32_e64 v13, s0, s9, v13, s0
	v_mov_b32_e32 v12, v14
	v_add_co_u32 v0, s0, v0, v7
	v_add_co_ci_u32_e64 v13, s0, v13, v8, s0
	v_lshlrev_b64 v[7:8], 3, v[9:10]
	v_mad_u64_u32 v[9:10], null, s21, v81, v[15:16]
	v_add_co_u32 v5, s0, v0, v5
	v_lshlrev_b64 v[10:11], 3, v[11:12]
	v_add_co_ci_u32_e64 v6, s0, v13, v6, s0
	v_add_co_u32 v7, s0, v0, v7
	v_add_nc_u32_e32 v18, 0x8dc, v80
	v_mov_b32_e32 v12, v20
	v_mov_b32_e32 v17, v9
	v_add_co_ci_u32_e64 v8, s0, v13, v8, s0
	v_add_co_u32 v9, s0, v0, v10
	v_mad_u64_u32 v[14:15], null, s20, v18, 0
	v_mad_u64_u32 v[20:21], null, s21, v22, v[12:13]
	v_add_co_ci_u32_e64 v10, s0, v13, v11, s0
	v_lshlrev_b64 v[11:12], 3, v[16:17]
	v_mad_u64_u32 v[16:17], null, s20, v82, 0
	v_add_nc_u32_e32 v24, 0x510, v80
	v_add_nc_u32_e32 v26, 0x948, v80
	;; [unrolled: 1-line block ×6, first 2 shown]
	v_mad_u64_u32 v[21:22], null, s21, v18, v[15:16]
	v_lshlrev_b64 v[18:19], 3, v[19:20]
	v_add_nc_u32_e32 v37, 0x5e8, v80
	v_add_co_u32 v11, s0, v0, v11
	v_add_co_ci_u32_e64 v12, s0, v13, v12, s0
	v_mad_u64_u32 v[22:23], null, s21, v82, v[17:18]
	v_mov_b32_e32 v15, v21
	v_mad_u64_u32 v[20:21], null, s20, v24, 0
	v_add_co_u32 v18, s0, v0, v18
	v_lshlrev_b64 v[14:15], 3, v[14:15]
	v_mov_b32_e32 v17, v22
	v_mad_u64_u32 v[22:23], null, s20, v26, 0
	v_add_co_ci_u32_e64 v19, s0, v13, v19, s0
	v_lshlrev_b64 v[16:17], 3, v[16:17]
	v_add_nc_u32_e32 v38, 0xa20, v80
	v_add_co_u32 v14, s0, v0, v14
	v_mad_u64_u32 v[24:25], null, s21, v24, v[21:22]
	v_add_co_ci_u32_e64 v15, s0, v13, v15, s0
	v_add_co_u32 v16, s0, v0, v16
	v_add_co_ci_u32_e64 v17, s0, v13, v17, s0
	v_mov_b32_e32 v21, v24
	v_mad_u64_u32 v[24:25], null, s20, v83, 0
	v_add_nc_u32_e32 v106, 0x21c, v80
	v_add_nc_u32_e32 v44, 0x654, v80
	v_lshlrev_b64 v[20:21], 3, v[20:21]
	v_add_nc_u32_e32 v45, 0xa8c, v80
	v_add_nc_u32_e32 v105, 0x288, v80
	;; [unrolled: 1-line block ×3, first 2 shown]
	v_mad_u64_u32 v[26:27], null, s21, v26, v[23:24]
	v_add_co_u32 v20, s0, v0, v20
	v_add_co_ci_u32_e64 v21, s0, v13, v21, s0
	v_add_nc_u32_e32 v49, 0xaf8, v80
	v_add_nc_u32_e32 v107, 0x2f4, v80
	v_mov_b32_e32 v23, v26
	v_mad_u64_u32 v[26:27], null, s20, v30, 0
	v_add_nc_u32_e32 v50, 0xb64, v80
	v_add_nc_u32_e32 v108, 0x360, v80
	v_lshlrev_b64 v[22:23], 3, v[22:23]
	v_add_nc_u32_e32 v109, 0x3cc, v80
	v_add_nc_u32_e32 v51, 0xc3c, v80
	v_mad_u64_u32 v[28:29], null, s21, v83, v[25:26]
	v_add_co_u32 v22, s0, v0, v22
	v_add_co_ci_u32_e64 v23, s0, v13, v23, s0
	v_mov_b32_e32 v25, v28
	v_mad_u64_u32 v[28:29], null, s20, v32, 0
	v_lshlrev_b64 v[24:25], 3, v[24:25]
	v_mad_u64_u32 v[30:31], null, s21, v30, v[27:28]
	v_add_co_u32 v24, s0, v0, v24
	v_add_co_ci_u32_e64 v25, s0, v13, v25, s0
	v_mov_b32_e32 v27, v30
	v_mad_u64_u32 v[30:31], null, s20, v84, 0
	v_lshlrev_b64 v[26:27], 3, v[26:27]
	;; [unrolled: 6-line block ×3, first 2 shown]
	v_mad_u64_u32 v[34:35], null, s21, v84, v[31:32]
	v_mad_u64_u32 v[35:36], null, s20, v38, 0
	v_add_co_u32 v28, s0, v0, v28
	v_add_co_ci_u32_e64 v29, s0, v13, v29, s0
	v_mov_b32_e32 v31, v34
	v_mad_u64_u32 v[33:34], null, s21, v37, v[33:34]
	v_mov_b32_e32 v34, v36
	v_lshlrev_b64 v[30:31], 3, v[30:31]
	v_mad_u64_u32 v[36:37], null, s21, v38, v[34:35]
	v_mad_u64_u32 v[37:38], null, s20, v106, 0
	v_add_co_u32 v39, s0, v0, v30
	v_add_co_ci_u32_e64 v40, s0, v13, v31, s0
	v_lshlrev_b64 v[30:31], 3, v[32:33]
	v_mad_u64_u32 v[33:34], null, s20, v44, 0
	v_mov_b32_e32 v32, v38
	v_add_co_u32 v66, s0, v0, v30
	v_add_co_ci_u32_e64 v67, s0, v13, v31, s0
	v_mad_u64_u32 v[41:42], null, s21, v106, v[32:33]
	v_lshlrev_b64 v[31:32], 3, v[35:36]
	v_mad_u64_u32 v[42:43], null, s20, v45, 0
	v_mov_b32_e32 v30, v34
	v_mov_b32_e32 v38, v41
	v_add_co_u32 v68, s0, v0, v31
	v_mad_u64_u32 v[35:36], null, s21, v44, v[30:31]
	v_mov_b32_e32 v34, v43
	v_lshlrev_b64 v[36:37], 3, v[37:38]
	v_mad_u64_u32 v[30:31], null, s20, v105, 0
	v_add_co_ci_u32_e64 v69, s0, v13, v32, s0
	v_mad_u64_u32 v[43:44], null, s21, v45, v[34:35]
	v_mov_b32_e32 v34, v35
	v_mad_u64_u32 v[44:45], null, s20, v47, 0
	v_add_co_u32 v35, s0, v0, v36
	v_lshlrev_b64 v[32:33], 3, v[33:34]
	v_add_co_ci_u32_e64 v36, s0, v13, v37, s0
	v_lshlrev_b64 v[37:38], 3, v[42:43]
	v_mov_b32_e32 v34, v45
	v_mad_u64_u32 v[41:42], null, s20, v49, 0
	v_mad_u64_u32 v[45:46], null, s21, v105, v[31:32]
	;; [unrolled: 1-line block ×3, first 2 shown]
	v_add_co_u32 v32, s0, v0, v32
	v_mov_b32_e32 v34, v42
	v_add_co_ci_u32_e64 v33, s0, v13, v33, s0
	v_mov_b32_e32 v31, v45
	v_mad_u64_u32 v[47:48], null, s20, v107, 0
	v_mad_u64_u32 v[42:43], null, s21, v49, v[34:35]
	v_lshlrev_b64 v[30:31], 3, v[30:31]
	v_add_co_u32 v70, s0, v0, v37
	v_add_nc_u32_e32 v49, 0x72c, v80
	v_add_co_ci_u32_e64 v71, s0, v13, v38, s0
	v_add_co_u32 v72, s0, v0, v30
	v_mov_b32_e32 v45, v46
	v_add_co_ci_u32_e64 v73, s0, v13, v31, s0
	v_lshlrev_b64 v[30:31], 3, v[41:42]
	v_mad_u64_u32 v[41:42], null, s20, v49, 0
	v_mov_b32_e32 v34, v48
	v_lshlrev_b64 v[43:44], 3, v[44:45]
	v_mad_u64_u32 v[45:46], null, s20, v50, 0
	v_mad_u64_u32 v[37:38], null, s21, v107, v[34:35]
	v_mov_b32_e32 v34, v42
	v_add_co_u32 v74, s0, v0, v43
	v_add_co_ci_u32_e64 v75, s0, v13, v44, s0
	v_mad_u64_u32 v[43:44], null, s21, v49, v[34:35]
	v_mov_b32_e32 v48, v37
	v_mov_b32_e32 v42, v46
	v_add_co_u32 v76, s0, v0, v30
	v_add_nc_u32_e32 v34, 0x798, v80
	v_lshlrev_b64 v[37:38], 3, v[47:48]
	v_mad_u64_u32 v[46:47], null, s21, v50, v[42:43]
	v_mad_u64_u32 v[47:48], null, s20, v108, 0
	v_mov_b32_e32 v42, v43
	v_add_co_ci_u32_e64 v77, s0, v13, v31, s0
	v_add_co_u32 v78, s0, v0, v37
	v_add_co_ci_u32_e64 v79, s0, v13, v38, s0
	v_mov_b32_e32 v30, v48
	v_lshlrev_b64 v[37:38], 3, v[41:42]
	v_mad_u64_u32 v[41:42], null, s20, v34, 0
	v_add_nc_u32_e32 v49, 0xbd0, v80
	v_mad_u64_u32 v[30:31], null, s21, v108, v[30:31]
	v_add_co_u32 v85, s0, v0, v37
	v_mad_u64_u32 v[43:44], null, s20, v49, 0
	v_add_co_ci_u32_e64 v86, s0, v13, v38, s0
	v_mov_b32_e32 v48, v30
	v_mov_b32_e32 v30, v42
	v_lshlrev_b64 v[37:38], 3, v[45:46]
	v_mad_u64_u32 v[45:46], null, s20, v109, 0
	v_mad_u64_u32 v[30:31], null, s21, v34, v[30:31]
	v_mov_b32_e32 v31, v44
	v_add_nc_u32_e32 v34, 0x804, v80
	v_add_co_u32 v87, s0, v0, v37
	v_add_co_ci_u32_e64 v88, s0, v13, v38, s0
	v_mov_b32_e32 v42, v30
	v_mov_b32_e32 v30, v46
	v_lshlrev_b64 v[37:38], 3, v[47:48]
	v_mad_u64_u32 v[46:47], null, s21, v49, v[31:32]
	v_mad_u64_u32 v[47:48], null, s20, v34, 0
	;; [unrolled: 1-line block ×4, first 2 shown]
	v_mov_b32_e32 v44, v46
	v_add_co_u32 v89, s0, v0, v37
	v_mov_b32_e32 v31, v48
	v_mov_b32_e32 v46, v30
	v_add_co_ci_u32_e64 v90, s0, v13, v38, s0
	v_mov_b32_e32 v30, v50
	v_lshlrev_b64 v[37:38], 3, v[41:42]
	v_lshlrev_b64 v[41:42], 3, v[43:44]
	v_mad_u64_u32 v[43:44], null, s21, v34, v[31:32]
	v_mad_u64_u32 v[30:31], null, s21, v51, v[30:31]
	v_add_co_u32 v91, s0, v0, v37
	v_add_co_ci_u32_e64 v92, s0, v13, v38, s0
	v_lshlrev_b64 v[37:38], 3, v[45:46]
	v_mov_b32_e32 v48, v43
	v_add_co_u32 v93, s0, v0, v41
	v_mov_b32_e32 v50, v30
	v_add_co_ci_u32_e64 v94, s0, v13, v42, s0
	v_lshlrev_b64 v[30:31], 3, v[47:48]
	v_add_co_u32 v95, s0, v0, v37
	v_add_co_ci_u32_e64 v96, s0, v13, v38, s0
	v_lshlrev_b64 v[37:38], 3, v[49:50]
	v_add_co_u32 v97, s0, v0, v30
	v_add_co_ci_u32_e64 v98, s0, v13, v31, s0
	v_add_co_u32 v99, s0, v0, v37
	v_add_co_ci_u32_e64 v100, s0, v13, v38, s0
	s_clause 0x1d
	global_load_dwordx2 v[52:53], v[5:6], off
	global_load_dwordx2 v[56:57], v[7:8], off
	;; [unrolled: 1-line block ×30, first 2 shown]
.LBB0_13:
	s_or_b32 exec_lo, exec_lo, s1
	s_waitcnt vmcnt(27)
	v_add_f32_e32 v0, v64, v56
	v_add_f32_e32 v7, v56, v52
	v_sub_f32_e32 v66, v57, v65
	v_add_f32_e32 v67, v57, v53
	s_waitcnt vmcnt(24)
	v_add_f32_e32 v68, v58, v62
	v_fmac_f32_e32 v52, -0.5, v0
	v_sub_f32_e32 v118, v56, v64
	s_waitcnt vmcnt(21)
	v_add_f32_e32 v56, v54, v60
	v_add_f32_e32 v0, v62, v50
	;; [unrolled: 1-line block ×4, first 2 shown]
	v_fmamk_f32 v67, v66, 0x3f5db3d7, v52
	v_fmac_f32_e32 v50, -0.5, v68
	v_mad_u32_u24 v119, v80, 12, 0
	v_sub_f32_e32 v64, v63, v59
	v_fmac_f32_e32 v52, 0xbf5db3d7, v66
	v_add_f32_e32 v57, v65, v57
	v_add_f32_e32 v65, v60, v48
	v_fmac_f32_e32 v48, -0.5, v56
	v_sub_f32_e32 v56, v61, v55
	s_waitcnt vmcnt(18)
	v_add_f32_e32 v66, v44, v46
	ds_write2_b32 v119, v7, v67 offset1:1
	v_fmamk_f32 v7, v64, 0x3f5db3d7, v50
	v_fmac_f32_e32 v50, 0xbf5db3d7, v64
	v_mad_i32_i24 v120, v81, 12, 0
	v_add_f32_e32 v0, v58, v0
	v_fmamk_f32 v64, v56, 0x3f5db3d7, v48
	v_fmac_f32_e32 v48, 0xbf5db3d7, v56
	v_add_f32_e32 v56, v46, v30
	v_fmac_f32_e32 v30, -0.5, v66
	v_sub_f32_e32 v66, v47, v45
	v_add_f32_e32 v65, v54, v65
	ds_write_b32 v119, v52 offset:8
	ds_write2_b32 v120, v0, v7 offset1:1
	v_mad_i32_i24 v121, v82, 12, 0
	ds_write_b32 v120, v50 offset:8
	s_waitcnt vmcnt(15)
	v_add_f32_e32 v50, v40, v42
	v_add_f32_e32 v7, v44, v56
	v_fmamk_f32 v52, v66, 0x3f5db3d7, v30
	v_mad_i32_i24 v0, v83, 12, 0
	ds_write2_b32 v121, v65, v64 offset1:1
	ds_write_b32 v121, v48 offset:8
	ds_write2_b32 v0, v7, v52 offset1:1
	v_add_f32_e32 v7, v42, v28
	v_fmac_f32_e32 v28, -0.5, v50
	v_sub_f32_e32 v52, v43, v41
	s_waitcnt vmcnt(12)
	v_add_f32_e32 v48, v36, v38
	v_fmac_f32_e32 v30, 0xbf5db3d7, v66
	v_add_f32_e32 v7, v40, v7
	v_mad_i32_i24 v50, v84, 12, 0
	v_fmamk_f32 v65, v52, 0x3f5db3d7, v28
	v_fmac_f32_e32 v28, 0xbf5db3d7, v52
	v_add_f32_e32 v56, v38, v24
	v_fmac_f32_e32 v24, -0.5, v48
	v_sub_f32_e32 v64, v39, v37
	ds_write_b32 v0, v30 offset:8
	ds_write2_b32 v50, v7, v65 offset1:1
	ds_write_b32 v50, v28 offset:8
	s_waitcnt vmcnt(9)
	v_add_f32_e32 v7, v32, v34
	v_add_f32_e32 v52, v36, v56
	v_mad_i32_i24 v48, v106, 12, 0
	v_fmamk_f32 v56, v64, 0x3f5db3d7, v24
	s_waitcnt vmcnt(6)
	v_add_f32_e32 v30, v22, v26
	v_add_f32_e32 v28, v34, v20
	v_fmac_f32_e32 v20, -0.5, v7
	v_sub_f32_e32 v7, v35, v33
	ds_write2_b32 v48, v52, v56 offset1:1
	v_fmac_f32_e32 v24, 0xbf5db3d7, v64
	v_add_f32_e32 v52, v26, v18
	v_fmac_f32_e32 v18, -0.5, v30
	v_sub_f32_e32 v30, v27, v23
	v_add_f32_e32 v28, v32, v28
	v_fmamk_f32 v56, v7, 0x3f5db3d7, v20
	v_mad_i32_i24 v122, v105, 12, 0
	v_fmac_f32_e32 v20, 0xbf5db3d7, v7
	v_add_f32_e32 v7, v22, v52
	v_fmamk_f32 v52, v30, 0x3f5db3d7, v18
	v_mad_i32_i24 v123, v107, 12, 0
	ds_write_b32 v48, v24 offset:8
	ds_write2_b32 v122, v28, v56 offset1:1
	ds_write_b32 v122, v20 offset:8
	s_waitcnt vmcnt(3)
	v_add_f32_e32 v20, v14, v16
	s_waitcnt vmcnt(0)
	v_add_f32_e32 v24, v10, v12
	v_add_f32_e32 v28, v12, v5
	ds_write2_b32 v123, v7, v52 offset1:1
	v_add_f32_e32 v7, v16, v8
	v_fmac_f32_e32 v8, -0.5, v20
	v_sub_f32_e32 v20, v17, v15
	v_fmac_f32_e32 v5, -0.5, v24
	v_sub_f32_e32 v24, v13, v11
	v_fmac_f32_e32 v18, 0xbf5db3d7, v30
	v_mad_i32_i24 v124, v108, 12, 0
	v_fmamk_f32 v30, v20, 0x3f5db3d7, v8
	v_fmac_f32_e32 v8, 0xbf5db3d7, v20
	v_add_f32_e32 v20, v10, v28
	v_fmamk_f32 v28, v24, 0x3f5db3d7, v5
	v_mad_i32_i24 v125, v109, 12, 0
	v_fmac_f32_e32 v5, 0xbf5db3d7, v24
	v_add_f32_e32 v7, v14, v7
	ds_write_b32 v123, v18 offset:8
	ds_write2_b32 v124, v7, v30 offset1:1
	ds_write_b32 v124, v8 offset:8
	ds_write2_b32 v125, v20, v28 offset1:1
	v_fmac_f32_e32 v53, -0.5, v57
	ds_write_b32 v125, v5 offset:8
	v_lshlrev_b32_e32 v5, 3, v105
	v_lshlrev_b32_e32 v8, 3, v108
	v_lshl_add_u32 v52, v80, 2, 0
	v_lshlrev_b32_e32 v18, 3, v109
	v_lshlrev_b32_e32 v93, 3, v83
	;; [unrolled: 1-line block ×4, first 2 shown]
	v_sub_nc_u32_e32 v103, v122, v5
	v_sub_nc_u32_e32 v115, v124, v8
	v_lshlrev_b32_e32 v97, 3, v106
	v_add_nc_u32_e32 v99, 0x2e00, v52
	v_fmamk_f32 v5, v118, 0xbf5db3d7, v53
	v_sub_nc_u32_e32 v104, v125, v18
	v_lshl_add_u32 v85, v81, 2, 0
	v_add_nc_u32_e32 v87, 0x1000, v52
	v_lshl_add_u32 v86, v82, 2, 0
	v_add_nc_u32_e32 v88, 0x2000, v52
	v_sub_nc_u32_e32 v100, v0, v93
	v_add_nc_u32_e32 v89, 0x1400, v52
	v_sub_nc_u32_e32 v101, v50, v94
	s_load_dwordx2 s[4:5], s[4:5], 0x0
	s_waitcnt lgkmcnt(0)
	s_barrier
	buffer_gl0_inv
	v_sub_nc_u32_e32 v116, v123, v7
	v_add_nc_u32_e32 v90, 0x2400, v52
	v_add_nc_u32_e32 v95, 0x1600, v52
	;; [unrolled: 1-line block ×3, first 2 shown]
	v_sub_nc_u32_e32 v102, v48, v97
	v_add_nc_u32_e32 v91, 0x1a00, v52
	v_add_nc_u32_e32 v92, 0x2a00, v52
	ds_read_b32 v114, v52
	ds_read_b32 v113, v85
	;; [unrolled: 1-line block ×8, first 2 shown]
	v_add_nc_u32_e32 v98, 0x1e00, v52
	ds_read_b32 v20, v115
	ds_read_b32 v18, v104
	ds_read2_b32 v[78:79], v87 offset0:56 offset1:164
	ds_read2_b32 v[76:77], v88 offset0:112 offset1:220
	;; [unrolled: 1-line block ×10, first 2 shown]
	s_waitcnt lgkmcnt(0)
	s_barrier
	buffer_gl0_inv
	ds_write2_b32 v119, v117, v5 offset1:1
	v_add_f32_e32 v5, v59, v63
	v_add_f32_e32 v117, v55, v61
	;; [unrolled: 1-line block ×3, first 2 shown]
	v_sub_f32_e32 v58, v62, v58
	v_sub_f32_e32 v54, v60, v54
	v_fmac_f32_e32 v51, -0.5, v5
	v_add_f32_e32 v5, v61, v49
	v_fmac_f32_e32 v49, -0.5, v117
	v_fmac_f32_e32 v53, 0x3f5db3d7, v118
	v_add_f32_e32 v59, v59, v63
	v_fmamk_f32 v60, v58, 0xbf5db3d7, v51
	v_fmac_f32_e32 v51, 0x3f5db3d7, v58
	v_add_f32_e32 v5, v55, v5
	v_fmamk_f32 v55, v54, 0xbf5db3d7, v49
	ds_write_b32 v119, v53 offset:8
	ds_write2_b32 v120, v59, v60 offset1:1
	ds_write_b32 v120, v51 offset:8
	ds_write2_b32 v121, v5, v55 offset1:1
	v_add_f32_e32 v5, v47, v31
	v_add_f32_e32 v47, v45, v47
	v_sub_f32_e32 v44, v46, v44
	v_add_f32_e32 v46, v43, v29
	v_add_f32_e32 v43, v41, v43
	;; [unrolled: 1-line block ×5, first 2 shown]
	v_fmac_f32_e32 v31, -0.5, v47
	v_sub_f32_e32 v40, v42, v40
	v_sub_f32_e32 v36, v38, v36
	v_add_f32_e32 v38, v35, v21
	v_fmac_f32_e32 v29, -0.5, v43
	v_fmac_f32_e32 v25, -0.5, v39
	v_fmac_f32_e32 v49, 0x3f5db3d7, v54
	v_sub_f32_e32 v32, v34, v32
	v_fmamk_f32 v34, v44, 0xbf5db3d7, v31
	v_fmac_f32_e32 v31, 0x3f5db3d7, v44
	v_add_f32_e32 v41, v41, v46
	v_add_f32_e32 v35, v33, v35
	;; [unrolled: 1-line block ×3, first 2 shown]
	v_fmamk_f32 v38, v40, 0xbf5db3d7, v29
	v_fmac_f32_e32 v29, 0x3f5db3d7, v40
	v_add_f32_e32 v37, v37, v45
	v_fmamk_f32 v39, v36, 0xbf5db3d7, v25
	ds_write_b32 v121, v49 offset:8
	ds_write2_b32 v0, v5, v34 offset1:1
	ds_write_b32 v0, v31 offset:8
	ds_write2_b32 v50, v41, v38 offset1:1
	;; [unrolled: 2-line block ×3, first 2 shown]
	v_add_f32_e32 v5, v23, v27
	v_fmac_f32_e32 v21, -0.5, v35
	v_fmac_f32_e32 v25, 0x3f5db3d7, v36
	v_add_f32_e32 v27, v27, v19
	v_sub_f32_e32 v22, v26, v22
	v_fmac_f32_e32 v19, -0.5, v5
	v_fmamk_f32 v5, v32, 0xbf5db3d7, v21
	v_fmac_f32_e32 v21, 0x3f5db3d7, v32
	ds_write_b32 v48, v25 offset:8
	v_add_f32_e32 v23, v23, v27
	v_fmamk_f32 v25, v22, 0xbf5db3d7, v19
	v_fmac_f32_e32 v19, 0x3f5db3d7, v22
	ds_write2_b32 v122, v33, v5 offset1:1
	ds_write_b32 v122, v21 offset:8
	ds_write2_b32 v123, v23, v25 offset1:1
	ds_write_b32 v123, v19 offset:8
	v_add_f32_e32 v19, v17, v9
	v_add_f32_e32 v17, v15, v17
	;; [unrolled: 1-line block ×4, first 2 shown]
	v_and_b32_e32 v32, 0xff, v81
	v_sub_f32_e32 v16, v16, v14
	v_fmac_f32_e32 v9, -0.5, v17
	v_fmac_f32_e32 v6, -0.5, v22
	v_sub_f32_e32 v10, v12, v10
	v_add_f32_e32 v11, v11, v13
	v_mul_lo_u16 v13, 0xab, v32
	v_add_f32_e32 v15, v15, v19
	v_fmamk_f32 v17, v16, 0xbf5db3d7, v9
	v_fmac_f32_e32 v9, 0x3f5db3d7, v16
	v_fmamk_f32 v16, v10, 0xbf5db3d7, v6
	v_fmac_f32_e32 v6, 0x3f5db3d7, v10
	v_lshrrev_b16 v10, 9, v13
	v_mov_b32_e32 v29, 0xaaab
	v_and_b32_e32 v5, 0xff, v80
	ds_write2_b32 v124, v15, v17 offset1:1
	ds_write_b32 v124, v9 offset:8
	ds_write_b32 v125, v6 offset:8
	v_mul_lo_u16 v9, v10, 3
	v_mul_u32_u24_sdwa v6, v82, v29 dst_sel:DWORD dst_unused:UNUSED_PAD src0_sel:WORD_0 src1_sel:DWORD
	v_mul_lo_u16 v21, 0xab, v5
	ds_write2_b32 v125, v11, v16 offset1:1
	v_mov_b32_e32 v27, 4
	v_sub_nc_u16 v11, v81, v9
	v_lshrrev_b32_e32 v9, 17, v6
	v_mul_u32_u24_sdwa v6, v83, v29 dst_sel:DWORD dst_unused:UNUSED_PAD src0_sel:WORD_0 src1_sel:DWORD
	v_lshrrev_b16 v14, 9, v21
	s_waitcnt lgkmcnt(0)
	s_barrier
	buffer_gl0_inv
	v_lshrrev_b32_e32 v19, 17, v6
	v_mul_lo_u16 v12, v14, 3
	v_lshlrev_b32_sdwa v15, v27, v11 dst_sel:DWORD dst_unused:UNUSED_PAD src0_sel:DWORD src1_sel:BYTE_0
	v_mul_u32_u24_sdwa v16, v84, v29 dst_sel:DWORD dst_unused:UNUSED_PAD src0_sel:WORD_0 src1_sel:DWORD
	v_mul_lo_u16 v5, v5, 57
	v_mul_lo_u16 v6, v19, 3
	v_sub_nc_u16 v12, v80, v12
	global_load_dwordx4 v[37:40], v15, s[12:13]
	v_cmp_gt_u32_e64 s0, 0x5a, v80
	v_sub_nc_u16 v22, v83, v6
	v_lshlrev_b32_sdwa v13, v27, v12 dst_sel:DWORD dst_unused:UNUSED_PAD src0_sel:DWORD src1_sel:BYTE_0
	v_lshlrev_b32_sdwa v6, v27, v22 dst_sel:DWORD dst_unused:UNUSED_PAD src0_sel:DWORD src1_sel:WORD_0
	s_clause 0x1
	global_load_dwordx4 v[33:36], v13, s[12:13]
	global_load_dwordx4 v[117:120], v6, s[12:13]
	v_mul_lo_u16 v13, v9, 3
	v_mul_u32_u24_sdwa v6, v105, v29 dst_sel:DWORD dst_unused:UNUSED_PAD src0_sel:WORD_0 src1_sel:DWORD
	v_mul_u32_u24_e32 v9, 36, v9
	v_sub_nc_u16 v23, v82, v13
	v_mul_u32_u24_sdwa v13, v106, v29 dst_sel:DWORD dst_unused:UNUSED_PAD src0_sel:WORD_0 src1_sel:DWORD
	v_lshlrev_b32_sdwa v21, v27, v23 dst_sel:DWORD dst_unused:UNUSED_PAD src0_sel:DWORD src1_sel:WORD_0
	v_lshrrev_b32_e32 v13, 17, v13
	global_load_dwordx4 v[41:44], v21, s[12:13]
	v_lshrrev_b32_e32 v15, 17, v16
	v_mul_lo_u16 v16, v15, 3
	v_sub_nc_u16 v17, v84, v16
	v_mul_lo_u16 v16, v13, 3
	v_lshlrev_b32_sdwa v21, v27, v17 dst_sel:DWORD dst_unused:UNUSED_PAD src0_sel:DWORD src1_sel:WORD_0
	v_sub_nc_u16 v16, v106, v16
	global_load_dwordx4 v[121:124], v21, s[12:13]
	v_lshlrev_b32_sdwa v25, v27, v16 dst_sel:DWORD dst_unused:UNUSED_PAD src0_sel:DWORD src1_sel:WORD_0
	global_load_dwordx4 v[125:128], v25, s[12:13]
	v_lshrrev_b32_e32 v21, 17, v6
	v_mul_u32_u24_sdwa v6, v107, v29 dst_sel:DWORD dst_unused:UNUSED_PAD src0_sel:WORD_0 src1_sel:DWORD
	v_mul_lo_u16 v26, v21, 3
	v_lshrrev_b32_e32 v25, 17, v6
	v_mul_u32_u24_sdwa v6, v108, v29 dst_sel:DWORD dst_unused:UNUSED_PAD src0_sel:WORD_0 src1_sel:DWORD
	v_mul_u32_u24_sdwa v29, v109, v29 dst_sel:DWORD dst_unused:UNUSED_PAD src0_sel:WORD_0 src1_sel:DWORD
	v_sub_nc_u16 v47, v105, v26
	v_mul_lo_u16 v31, v25, 3
	v_lshrrev_b32_e32 v26, 17, v6
	v_lshrrev_b32_e32 v29, 17, v29
	v_lshlrev_b32_sdwa v6, v27, v47 dst_sel:DWORD dst_unused:UNUSED_PAD src0_sel:DWORD src1_sel:WORD_0
	v_sub_nc_u16 v149, v107, v31
	v_mul_lo_u16 v31, v26, 3
	global_load_dwordx4 v[129:132], v6, s[12:13]
	v_sub_nc_u16 v150, v108, v31
	v_mul_lo_u16 v31, v29, 3
	v_lshlrev_b32_sdwa v45, v27, v150 dst_sel:DWORD dst_unused:UNUSED_PAD src0_sel:DWORD src1_sel:WORD_0
	v_sub_nc_u16 v109, v109, v31
	global_load_dwordx4 v[137:140], v45, s[12:13]
	v_lshlrev_b32_sdwa v6, v27, v149 dst_sel:DWORD dst_unused:UNUSED_PAD src0_sel:DWORD src1_sel:WORD_0
	global_load_dwordx4 v[133:136], v6, s[12:13]
	v_lshlrev_b32_sdwa v6, v27, v109 dst_sel:DWORD dst_unused:UNUSED_PAD src0_sel:DWORD src1_sel:WORD_0
	global_load_dwordx4 v[141:144], v6, s[12:13]
	ds_read2_b32 v[45:46], v87 offset0:56 offset1:164
	ds_read2_b32 v[53:54], v88 offset0:112 offset1:220
	;; [unrolled: 1-line block ×6, first 2 shown]
	s_waitcnt vmcnt(8) lgkmcnt(5)
	v_mul_f32_e32 v6, v45, v34
	s_waitcnt lgkmcnt(4)
	v_mul_f32_e32 v31, v53, v36
	v_mul_f32_e32 v151, v76, v36
	;; [unrolled: 1-line block ×4, first 2 shown]
	v_fma_f32 v152, v78, v33, -v6
	v_mul_f32_e32 v6, v54, v40
	v_fma_f32 v153, v76, v35, -v31
	v_fmac_f32_e32 v151, v53, v35
	v_fma_f32 v105, v79, v37, -v36
	ds_read2_b32 v[35:36], v92 offset0:120 offset1:228
	v_fma_f32 v106, v77, v39, -v6
	v_mul_f32_e32 v78, v79, v38
	v_mul_f32_e32 v79, v77, v40
	v_fmac_f32_e32 v27, v45, v33
	ds_read2_b32 v[33:34], v91 offset0:64 offset1:172
	s_waitcnt vmcnt(7) lgkmcnt(5)
	v_mul_f32_e32 v38, v59, v118
	v_fmac_f32_e32 v78, v46, v37
	v_fmac_f32_e32 v79, v54, v39
	s_waitcnt lgkmcnt(4)
	v_mul_f32_e32 v39, v108, v120
	s_waitcnt vmcnt(6)
	v_mul_f32_e32 v31, v58, v42
	v_mul_f32_e32 v6, v107, v44
	;; [unrolled: 1-line block ×4, first 2 shown]
	ds_read2_b32 v[44:45], v98 offset0:24 offset1:132
	v_fma_f32 v74, v74, v41, -v31
	v_fma_f32 v72, v72, v43, -v6
	v_mul_f32_e32 v62, v73, v120
	v_fmac_f32_e32 v60, v107, v43
	v_fmac_f32_e32 v76, v58, v41
	v_fma_f32 v73, v73, v119, -v39
	v_mul_f32_e32 v77, v75, v118
	v_fma_f32 v75, v75, v117, -v38
	v_fmac_f32_e32 v62, v108, v119
	v_fmac_f32_e32 v77, v59, v117
	s_waitcnt vmcnt(5) lgkmcnt(4)
	v_mul_f32_e32 v42, v145, v122
	s_waitcnt lgkmcnt(3)
	v_mul_f32_e32 v6, v147, v124
	v_mul_f32_e32 v40, v70, v122
	;; [unrolled: 1-line block ×3, first 2 shown]
	v_fma_f32 v51, v70, v121, -v42
	s_waitcnt vmcnt(4)
	v_mul_f32_e32 v31, v146, v126
	v_fma_f32 v54, v68, v123, -v6
	v_mul_f32_e32 v55, v71, v126
	v_mul_f32_e32 v6, v148, v128
	;; [unrolled: 1-line block ×3, first 2 shown]
	v_fma_f32 v68, v71, v125, -v31
	ds_read2_b32 v[70:71], v99 offset0:80 offset1:188
	v_add_f32_e32 v42, v114, v152
	v_fma_f32 v69, v69, v127, -v6
	v_fmac_f32_e32 v40, v145, v121
	ds_read_b32 v107, v52
	ds_read_b32 v108, v85
	;; [unrolled: 1-line block ×8, first 2 shown]
	v_fmac_f32_e32 v37, v147, v123
	v_fmac_f32_e32 v55, v146, v125
	;; [unrolled: 1-line block ×3, first 2 shown]
	v_sub_f32_e32 v125, v152, v153
	v_add_f32_e32 v126, v78, v79
	s_waitcnt vmcnt(3) lgkmcnt(11)
	v_mul_f32_e32 v31, v35, v132
	v_mul_f32_e32 v43, v66, v130
	s_waitcnt lgkmcnt(10)
	v_mul_f32_e32 v6, v33, v130
	v_mul_f32_e32 v38, v64, v132
	v_fma_f32 v53, v64, v131, -v31
	v_fmac_f32_e32 v43, v33, v129
	v_fma_f32 v46, v66, v129, -v6
	v_fmac_f32_e32 v38, v35, v131
	v_add_nc_u32_e32 v66, 0x600, v52
	s_waitcnt vmcnt(2) lgkmcnt(9)
	v_mul_f32_e32 v33, v44, v138
	v_mul_f32_e32 v41, v56, v138
	v_fma_f32 v39, v56, v137, -v33
	s_waitcnt vmcnt(1)
	v_mul_f32_e32 v31, v36, v136
	v_mul_f32_e32 v49, v65, v136
	;; [unrolled: 1-line block ×4, first 2 shown]
	v_fmac_f32_e32 v41, v44, v137
	v_fma_f32 v63, v65, v135, -v31
	s_waitcnt lgkmcnt(8)
	v_mul_f32_e32 v31, v70, v140
	v_fmac_f32_e32 v49, v36, v135
	v_mul_f32_e32 v36, v7, v140
	s_waitcnt vmcnt(0)
	v_mul_f32_e32 v33, v45, v142
	v_fmac_f32_e32 v58, v34, v133
	v_fma_f32 v56, v7, v139, -v31
	v_mov_b32_e32 v7, 36
	v_mov_b32_e32 v31, 2
	v_mul_f32_e32 v64, v8, v144
	v_add_f32_e32 v34, v152, v153
	v_fma_f32 v35, v57, v141, -v33
	v_mul_u32_u24_sdwa v14, v14, v7 dst_sel:DWORD dst_unused:UNUSED_PAD src0_sel:WORD_0 src1_sel:DWORD
	v_lshlrev_b32_sdwa v12, v31, v12 dst_sel:DWORD dst_unused:UNUSED_PAD src0_sel:DWORD src1_sel:BYTE_0
	v_mul_f32_e32 v33, v71, v144
	v_fmac_f32_e32 v64, v71, v143
	v_fmac_f32_e32 v114, -0.5, v34
	v_fma_f32 v59, v67, v133, -v6
	v_add3_u32 v71, 0, v14, v12
	v_sub_f32_e32 v12, v27, v151
	v_mul_f32_e32 v6, v57, v142
	v_fma_f32 v57, v8, v143, -v33
	v_add_f32_e32 v33, v105, v106
	v_add_f32_e32 v8, v42, v153
	v_fmamk_f32 v14, v12, 0x3f5db3d7, v114
	v_mul_u32_u24_sdwa v7, v10, v7 dst_sel:DWORD dst_unused:UNUSED_PAD src0_sel:WORD_0 src1_sel:DWORD
	v_lshlrev_b32_sdwa v10, v31, v11 dst_sel:DWORD dst_unused:UNUSED_PAD src0_sel:DWORD src1_sel:BYTE_0
	v_fmac_f32_e32 v114, 0xbf5db3d7, v12
	v_add_f32_e32 v12, v113, v105
	v_fmac_f32_e32 v113, -0.5, v33
	v_sub_f32_e32 v11, v78, v79
	v_fmac_f32_e32 v36, v70, v139
	ds_read_b32 v70, v115
	ds_read_b32 v65, v104
	s_waitcnt lgkmcnt(0)
	s_barrier
	buffer_gl0_inv
	ds_write2_b32 v71, v8, v14 offset1:3
	ds_write_b32 v71, v114 offset:24
	v_add3_u32 v114, 0, v7, v10
	v_add_f32_e32 v10, v74, v72
	v_add_f32_e32 v7, v12, v106
	v_fmamk_f32 v8, v11, 0x3f5db3d7, v113
	v_lshlrev_b32_sdwa v12, v31, v23 dst_sel:DWORD dst_unused:UNUSED_PAD src0_sel:DWORD src1_sel:WORD_0
	v_fmac_f32_e32 v113, 0xbf5db3d7, v11
	v_add_f32_e32 v11, v112, v74
	v_fmac_f32_e32 v112, -0.5, v10
	v_sub_f32_e32 v10, v76, v60
	ds_write2_b32 v114, v7, v8 offset1:3
	ds_write_b32 v114, v113 offset:24
	v_add3_u32 v113, 0, v9, v12
	v_add_f32_e32 v9, v75, v73
	v_add_f32_e32 v7, v11, v72
	v_fmamk_f32 v8, v10, 0x3f5db3d7, v112
	v_fmac_f32_e32 v112, 0xbf5db3d7, v10
	v_add_f32_e32 v10, v111, v75
	v_mul_u32_u24_e32 v11, 36, v19
	v_lshlrev_b32_sdwa v12, v31, v22 dst_sel:DWORD dst_unused:UNUSED_PAD src0_sel:DWORD src1_sel:WORD_0
	v_fmac_f32_e32 v111, -0.5, v9
	v_sub_f32_e32 v9, v77, v62
	ds_write2_b32 v113, v7, v8 offset1:3
	ds_write_b32 v113, v112 offset:24
	v_add_f32_e32 v7, v10, v73
	v_add_f32_e32 v10, v51, v54
	v_add3_u32 v112, 0, v11, v12
	v_fmamk_f32 v8, v9, 0x3f5db3d7, v111
	v_fmac_f32_e32 v111, 0xbf5db3d7, v9
	v_add_f32_e32 v9, v110, v51
	v_mul_u32_u24_e32 v11, 36, v15
	v_lshlrev_b32_sdwa v12, v31, v17 dst_sel:DWORD dst_unused:UNUSED_PAD src0_sel:DWORD src1_sel:WORD_0
	v_fmac_f32_e32 v110, -0.5, v10
	v_sub_f32_e32 v10, v40, v37
	ds_write2_b32 v112, v7, v8 offset1:3
	ds_write_b32 v112, v111 offset:24
	v_add_f32_e32 v7, v9, v54
	v_add_f32_e32 v9, v68, v69
	v_add3_u32 v111, 0, v11, v12
	v_fmamk_f32 v8, v10, 0x3f5db3d7, v110
	v_fmac_f32_e32 v110, 0xbf5db3d7, v10
	v_mul_u32_u24_e32 v10, 36, v13
	v_lshlrev_b32_sdwa v11, v31, v16 dst_sel:DWORD dst_unused:UNUSED_PAD src0_sel:DWORD src1_sel:WORD_0
	v_add_f32_e32 v12, v30, v68
	v_fmac_f32_e32 v30, -0.5, v9
	v_add_f32_e32 v9, v46, v53
	ds_write_b32 v111, v110 offset:24
	v_add3_u32 v110, 0, v10, v11
	v_mul_u32_u24_e32 v10, 36, v21
	v_lshlrev_b32_sdwa v11, v31, v47 dst_sel:DWORD dst_unused:UNUSED_PAD src0_sel:DWORD src1_sel:WORD_0
	ds_write2_b32 v111, v7, v8 offset1:3
	v_add_f32_e32 v7, v12, v69
	v_sub_f32_e32 v8, v55, v61
	v_add_f32_e32 v12, v28, v46
	v_fmac_f32_e32 v28, -0.5, v9
	v_add_f32_e32 v9, v59, v63
	v_add3_u32 v115, 0, v10, v11
	v_sub_f32_e32 v10, v43, v38
	v_fmamk_f32 v13, v8, 0x3f5db3d7, v30
	v_fmac_f32_e32 v30, 0xbf5db3d7, v8
	v_add_f32_e32 v8, v12, v53
	v_add_f32_e32 v11, v24, v59
	v_mul_u32_u24_e32 v12, 36, v25
	v_lshlrev_b32_sdwa v14, v31, v149 dst_sel:DWORD dst_unused:UNUSED_PAD src0_sel:DWORD src1_sel:WORD_0
	v_fmac_f32_e32 v24, -0.5, v9
	v_sub_f32_e32 v9, v58, v49
	v_fmamk_f32 v15, v10, 0x3f5db3d7, v28
	v_fmac_f32_e32 v28, 0xbf5db3d7, v10
	v_add3_u32 v122, 0, v12, v14
	v_add_f32_e32 v10, v11, v63
	v_fmamk_f32 v11, v9, 0x3f5db3d7, v24
	ds_write2_b32 v110, v7, v13 offset1:3
	ds_write_b32 v110, v30 offset:24
	ds_write2_b32 v115, v8, v15 offset1:3
	ds_write_b32 v115, v28 offset:24
	ds_write2_b32 v122, v10, v11 offset1:3
	v_add_f32_e32 v7, v39, v56
	v_fmac_f32_e32 v24, 0xbf5db3d7, v9
	v_mul_u32_u24_e32 v8, 36, v26
	v_lshlrev_b32_sdwa v9, v31, v150 dst_sel:DWORD dst_unused:UNUSED_PAD src0_sel:DWORD src1_sel:WORD_0
	v_add_f32_e32 v10, v20, v39
	v_fmac_f32_e32 v20, -0.5, v7
	v_sub_f32_e32 v7, v41, v36
	v_add_f32_e32 v11, v18, v35
	v_fmac_f32_e32 v6, v45, v141
	v_add3_u32 v123, 0, v8, v9
	v_add_f32_e32 v8, v10, v56
	v_add_f32_e32 v9, v35, v57
	v_fmamk_f32 v10, v7, 0x3f5db3d7, v20
	v_fmac_f32_e32 v20, 0xbf5db3d7, v7
	v_add_f32_e32 v7, v11, v57
	v_add_f32_e32 v11, v27, v151
	ds_write_b32 v122, v24 offset:24
	v_mul_u32_u24_e32 v12, 36, v29
	v_lshlrev_b32_sdwa v13, v31, v109 dst_sel:DWORD dst_unused:UNUSED_PAD src0_sel:DWORD src1_sel:WORD_0
	v_fmac_f32_e32 v18, -0.5, v9
	v_sub_f32_e32 v9, v6, v64
	ds_write2_b32 v123, v8, v10 offset1:3
	v_add_f32_e32 v10, v107, v27
	v_fmac_f32_e32 v107, -0.5, v11
	v_add3_u32 v109, 0, v12, v13
	v_fmamk_f32 v8, v9, 0x3f5db3d7, v18
	v_fmac_f32_e32 v18, 0xbf5db3d7, v9
	v_add_f32_e32 v124, v10, v151
	v_sub_f32_e32 v105, v105, v106
	v_fmamk_f32 v106, v125, 0xbf5db3d7, v107
	v_fmac_f32_e32 v107, 0x3f5db3d7, v125
	ds_write_b32 v123, v20 offset:24
	ds_write2_b32 v109, v7, v8 offset1:3
	ds_write_b32 v109, v18 offset:24
	s_waitcnt lgkmcnt(0)
	s_barrier
	buffer_gl0_inv
	ds_read_b32 v44, v104
	ds_read_b32 v42, v52
	;; [unrolled: 1-line block ×3, first 2 shown]
	v_add_nc_u32_e32 v67, 0xa00, v52
	ds_read_b32 v45, v103
	ds_read_b32 v47, v100
	ds_read_b32 v33, v86
	ds_read2_b32 v[25:26], v89 offset0:16 offset1:124
	ds_read2_b32 v[21:22], v95 offset0:104 offset1:212
	;; [unrolled: 1-line block ×12, first 2 shown]
	s_waitcnt lgkmcnt(0)
	s_barrier
	buffer_gl0_inv
	ds_write2_b32 v71, v124, v106 offset1:3
	ds_write_b32 v71, v107 offset:24
	v_add_f32_e32 v71, v76, v60
	v_add_f32_e32 v78, v108, v78
	v_fmac_f32_e32 v108, -0.5, v126
	v_add_f32_e32 v76, v117, v76
	v_sub_f32_e32 v73, v75, v73
	v_fmac_f32_e32 v117, -0.5, v71
	v_sub_f32_e32 v71, v74, v72
	v_add_f32_e32 v78, v78, v79
	v_fmamk_f32 v79, v105, 0xbf5db3d7, v108
	v_fmac_f32_e32 v108, 0x3f5db3d7, v105
	v_add_f32_e32 v60, v76, v60
	v_fmamk_f32 v74, v71, 0xbf5db3d7, v117
	v_fmac_f32_e32 v117, 0x3f5db3d7, v71
	ds_write2_b32 v114, v78, v79 offset1:3
	v_add_f32_e32 v78, v77, v62
	ds_write_b32 v114, v108 offset:24
	ds_write2_b32 v113, v60, v74 offset1:3
	ds_write_b32 v113, v117 offset:24
	v_add_f32_e32 v60, v40, v37
	v_add_f32_e32 v72, v118, v77
	;; [unrolled: 1-line block ×3, first 2 shown]
	v_fmac_f32_e32 v118, -0.5, v78
	v_sub_f32_e32 v51, v51, v54
	v_fmac_f32_e32 v119, -0.5, v60
	v_add_f32_e32 v62, v72, v62
	v_add_f32_e32 v37, v40, v37
	v_fmamk_f32 v71, v73, 0xbf5db3d7, v118
	v_fmac_f32_e32 v118, 0x3f5db3d7, v73
	v_fmamk_f32 v40, v51, 0xbf5db3d7, v119
	v_fmac_f32_e32 v119, 0x3f5db3d7, v51
	v_add_f32_e32 v54, v120, v55
	ds_write2_b32 v112, v62, v71 offset1:3
	v_add_f32_e32 v62, v55, v61
	ds_write_b32 v112, v118 offset:24
	ds_write2_b32 v111, v37, v40 offset1:3
	ds_write_b32 v111, v119 offset:24
	v_add_f32_e32 v37, v43, v38
	v_add_f32_e32 v40, v58, v49
	v_sub_f32_e32 v55, v68, v69
	v_fmac_f32_e32 v120, -0.5, v62
	v_add_f32_e32 v43, v121, v43
	v_fmac_f32_e32 v121, -0.5, v37
	v_sub_f32_e32 v37, v46, v53
	v_add_f32_e32 v46, v116, v58
	v_fmac_f32_e32 v116, -0.5, v40
	v_sub_f32_e32 v40, v59, v63
	v_add_f32_e32 v51, v54, v61
	v_fmamk_f32 v54, v55, 0xbf5db3d7, v120
	v_fmac_f32_e32 v120, 0x3f5db3d7, v55
	v_add_f32_e32 v38, v43, v38
	v_fmamk_f32 v43, v37, 0xbf5db3d7, v121
	v_fmac_f32_e32 v121, 0x3f5db3d7, v37
	v_add_f32_e32 v37, v46, v49
	v_fmamk_f32 v46, v40, 0xbf5db3d7, v116
	ds_write2_b32 v110, v51, v54 offset1:3
	ds_write_b32 v110, v120 offset:24
	ds_write2_b32 v115, v38, v43 offset1:3
	v_add_f32_e32 v38, v41, v36
	ds_write_b32 v115, v121 offset:24
	ds_write2_b32 v122, v37, v46 offset1:3
	v_add_f32_e32 v37, v70, v41
	v_fmac_f32_e32 v116, 0x3f5db3d7, v40
	v_sub_f32_e32 v35, v35, v57
	v_fmac_f32_e32 v70, -0.5, v38
	v_sub_f32_e32 v38, v39, v56
	v_mul_lo_u16 v39, v32, 57
	v_add_f32_e32 v36, v37, v36
	v_mov_b32_e32 v37, 0xe38f
	v_mov_b32_e32 v41, 9
	v_fmamk_f32 v40, v38, 0xbf5db3d7, v70
	v_lshrrev_b16 v72, 9, v39
	v_add_f32_e32 v39, v6, v64
	v_mul_u32_u24_sdwa v37, v82, v37 dst_sel:DWORD dst_unused:UNUSED_PAD src0_sel:WORD_0 src1_sel:DWORD
	v_fmac_f32_e32 v70, 0x3f5db3d7, v38
	v_add_f32_e32 v6, v65, v6
	v_mul_lo_u16 v38, v72, 9
	v_fmac_f32_e32 v65, -0.5, v39
	v_lshrrev_b32_e32 v57, 19, v37
	ds_write_b32 v122, v116 offset:24
	v_add_f32_e32 v6, v6, v64
	v_sub_nc_u16 v74, v81, v38
	v_fmamk_f32 v37, v35, 0xbf5db3d7, v65
	v_mul_lo_u16 v38, v57, 9
	v_fmac_f32_e32 v65, 0x3f5db3d7, v35
	ds_write2_b32 v123, v36, v40 offset1:3
	ds_write_b32 v123, v70 offset:24
	v_mul_u32_u24_sdwa v35, v74, v41 dst_sel:DWORD dst_unused:UNUSED_PAD src0_sel:BYTE_0 src1_sel:DWORD
	ds_write2_b32 v109, v6, v37 offset1:3
	v_sub_nc_u16 v64, v82, v38
	v_lshrrev_b16 v76, 9, v5
	ds_write_b32 v109, v65 offset:24
	v_lshlrev_b32_e32 v6, 3, v35
	s_waitcnt lgkmcnt(0)
	v_mul_u32_u24_sdwa v5, v64, v41 dst_sel:DWORD dst_unused:UNUSED_PAD src0_sel:WORD_0 src1_sel:DWORD
	s_barrier
	buffer_gl0_inv
	global_load_dwordx4 v[37:40], v6, s[12:13] offset:48
	v_mul_lo_u16 v35, v76, 9
	v_lshlrev_b32_e32 v5, 3, v5
	v_mul_lo_u16 v32, 0xb7, v32
	v_sub_nc_u16 v75, v80, v35
	global_load_dwordx4 v[53:56], v5, s[12:13] offset:48
	v_mul_u32_u24_sdwa v35, v75, v41 dst_sel:DWORD dst_unused:UNUSED_PAD src0_sel:BYTE_0 src1_sel:DWORD
	v_lshlrev_b32_sdwa v75, v31, v75 dst_sel:DWORD dst_unused:UNUSED_PAD src0_sel:DWORD src1_sel:BYTE_0
	v_lshlrev_b32_e32 v35, 3, v35
	s_clause 0xc
	global_load_dwordx4 v[68:71], v35, s[12:13] offset:48
	global_load_dwordx4 v[105:108], v35, s[12:13] offset:64
	;; [unrolled: 1-line block ×10, first 2 shown]
	global_load_dwordx2 v[141:142], v35, s[12:13] offset:112
	global_load_dwordx2 v[143:144], v6, s[12:13] offset:112
	;; [unrolled: 1-line block ×3, first 2 shown]
	ds_read2_b32 v[58:59], v66 offset0:48 offset1:156
	ds_read2_b32 v[60:61], v67 offset0:116 offset1:224
	ds_read_b32 v49, v104
	ds_read_b32 v51, v100
	;; [unrolled: 1-line block ×3, first 2 shown]
	ds_read2_b32 v[62:63], v89 offset0:16 offset1:124
	ds_read2_b32 v[78:79], v98 offset0:24 offset1:132
	;; [unrolled: 1-line block ×3, first 2 shown]
	s_waitcnt vmcnt(14) lgkmcnt(7)
	v_mul_f32_e32 v36, v58, v38
	v_mul_f32_e32 v41, v29, v38
	s_waitcnt lgkmcnt(6)
	v_mul_f32_e32 v38, v60, v40
	v_mul_f32_e32 v43, v27, v40
	v_fma_f32 v40, v29, v37, -v36
	v_fmac_f32_e32 v41, v58, v37
	v_fma_f32 v46, v27, v39, -v38
	s_waitcnt vmcnt(13)
	v_mul_f32_e32 v27, v61, v56
	v_mul_f32_e32 v38, v28, v56
	;; [unrolled: 1-line block ×4, first 2 shown]
	v_fmac_f32_e32 v43, v60, v39
	v_fma_f32 v39, v28, v55, -v27
	v_fmac_f32_e32 v38, v61, v55
	s_waitcnt vmcnt(12) lgkmcnt(4)
	v_mul_f32_e32 v27, v51, v69
	v_mul_f32_e32 v61, v47, v69
	v_fma_f32 v36, v30, v53, -v66
	v_fmac_f32_e32 v35, v59, v53
	ds_read2_b32 v[53:54], v87 offset0:56 offset1:164
	v_fma_f32 v60, v47, v68, -v27
	v_fmac_f32_e32 v61, v51, v68
	ds_read2_b32 v[67:68], v95 offset0:104 offset1:212
	s_waitcnt lgkmcnt(5)
	v_mul_f32_e32 v28, v65, v71
	s_waitcnt vmcnt(11)
	v_mul_f32_e32 v30, v44, v106
	s_waitcnt lgkmcnt(4)
	v_mul_f32_e32 v29, v62, v108
	v_mul_f32_e32 v66, v45, v71
	;; [unrolled: 1-line block ×3, first 2 shown]
	v_fma_f32 v27, v45, v70, -v28
	v_mul_f32_e32 v28, v49, v106
	v_fmac_f32_e32 v30, v49, v105
	v_fma_f32 v25, v25, v107, -v29
	s_waitcnt vmcnt(10)
	v_mul_f32_e32 v55, v26, v112
	v_fmac_f32_e32 v69, v62, v107
	v_fma_f32 v77, v44, v105, -v28
	v_mul_f32_e32 v28, v63, v112
	ds_read2_b32 v[105:106], v88 offset0:112 offset1:220
	s_waitcnt vmcnt(8) lgkmcnt(4)
	v_mul_f32_e32 v47, v78, v120
	ds_read2_b32 v[107:108], v90 offset0:72 offset1:180
	s_waitcnt lgkmcnt(3)
	v_mul_f32_e32 v29, v53, v110
	v_mul_f32_e32 v44, v54, v114
	v_fma_f32 v58, v26, v111, -v28
	s_waitcnt lgkmcnt(2)
	v_mul_f32_e32 v45, v67, v116
	v_mul_f32_e32 v28, v23, v110
	;; [unrolled: 1-line block ×3, first 2 shown]
	v_fma_f32 v29, v23, v109, -v29
	v_fma_f32 v23, v24, v113, -v44
	v_mul_f32_e32 v44, v21, v116
	v_fma_f32 v45, v21, v115, -v45
	v_mul_f32_e32 v24, v68, v118
	v_mul_f32_e32 v21, v22, v118
	v_fmac_f32_e32 v55, v63, v111
	v_fmac_f32_e32 v44, v67, v115
	;; [unrolled: 1-line block ×3, first 2 shown]
	v_fma_f32 v24, v22, v117, -v24
	v_fmac_f32_e32 v21, v68, v117
	s_waitcnt vmcnt(7)
	v_mul_f32_e32 v22, v79, v124
	ds_read2_b32 v[67:68], v96 offset0:32 offset1:140
	v_mul_f32_e32 v71, v19, v120
	v_fma_f32 v19, v19, v119, -v47
	v_mul_f32_e32 v47, v103, v122
	v_fma_f32 v63, v20, v123, -v22
	s_waitcnt vmcnt(6)
	v_mul_f32_e32 v22, v104, v126
	ds_read2_b32 v[109:110], v92 offset0:120 offset1:228
	v_mul_f32_e32 v59, v20, v124
	v_fma_f32 v20, v17, v121, -v47
	v_mul_f32_e32 v47, v18, v126
	v_fma_f32 v18, v18, v125, -v22
	s_waitcnt lgkmcnt(3)
	v_mul_f32_e32 v22, v105, v128
	s_waitcnt vmcnt(5)
	v_mul_f32_e32 v51, v106, v130
	v_fmac_f32_e32 v66, v65, v70
	v_fmac_f32_e32 v71, v78, v119
	v_mul_f32_e32 v65, v17, v122
	v_mul_f32_e32 v49, v15, v128
	;; [unrolled: 1-line block ×3, first 2 shown]
	v_fma_f32 v53, v15, v127, -v22
	v_fma_f32 v78, v16, v129, -v51
	ds_read2_b32 v[15:16], v99 offset0:80 offset1:188
	v_fmac_f32_e32 v26, v54, v113
	s_waitcnt lgkmcnt(2)
	v_mul_f32_e32 v22, v67, v132
	s_waitcnt vmcnt(4)
	v_mul_f32_e32 v62, v12, v136
	v_mul_f32_e32 v54, v107, v134
	;; [unrolled: 1-line block ×4, first 2 shown]
	v_fma_f32 v11, v11, v131, -v22
	v_fmac_f32_e32 v62, v68, v135
	v_fma_f32 v22, v13, v133, -v54
	v_mul_f32_e32 v68, v13, v134
	s_waitcnt vmcnt(3) lgkmcnt(1)
	v_mul_f32_e32 v13, v109, v140
	v_fma_f32 v70, v12, v135, -v51
	v_mul_f32_e32 v12, v108, v138
	v_mul_f32_e32 v54, v7, v140
	v_fmac_f32_e32 v59, v79, v123
	v_fma_f32 v56, v7, v139, -v13
	s_waitcnt vmcnt(2)
	v_mul_f32_e32 v13, v110, v142
	v_mul_f32_e32 v7, v8, v142
	v_fmac_f32_e32 v17, v106, v129
	v_fmac_f32_e32 v73, v67, v131
	v_mul_f32_e32 v51, v14, v138
	v_fma_f32 v12, v14, v137, -v12
	s_waitcnt vmcnt(1) lgkmcnt(0)
	v_mul_f32_e32 v14, v15, v144
	v_mul_f32_e32 v67, v9, v144
	s_waitcnt vmcnt(0)
	v_mul_f32_e32 v79, v16, v6
	v_fma_f32 v13, v8, v141, -v13
	v_fmac_f32_e32 v7, v110, v141
	v_fmac_f32_e32 v65, v103, v121
	;; [unrolled: 1-line block ×3, first 2 shown]
	v_fma_f32 v9, v9, v143, -v14
	v_fmac_f32_e32 v67, v15, v143
	v_fma_f32 v8, v10, v5, -v79
	v_mul_f32_e32 v6, v10, v6
	v_sub_f32_e32 v10, v27, v25
	v_sub_f32_e32 v14, v11, v19
	v_sub_f32_e32 v15, v77, v24
	v_sub_f32_e32 v79, v13, v78
	v_sub_f32_e32 v103, v30, v21
	v_sub_f32_e32 v104, v7, v17
	v_fmac_f32_e32 v49, v105, v127
	v_mov_b32_e32 v105, 0x168
	v_add_f32_e32 v10, v10, v14
	v_add_f32_e32 v14, v15, v79
	;; [unrolled: 1-line block ×5, first 2 shown]
	v_fmac_f32_e32 v6, v16, v5
	v_mul_u32_u24_sdwa v5, v76, v105 dst_sel:DWORD dst_unused:UNUSED_PAD src0_sel:WORD_0 src1_sel:DWORD
	v_add_f32_e32 v76, v42, v27
	v_fma_f32 v106, -0.5, v79, v42
	v_fma_f32 v79, -0.5, v104, v60
	v_add_f32_e32 v104, v60, v77
	v_add_f32_e32 v16, v21, v17
	;; [unrolled: 1-line block ×4, first 2 shown]
	v_sub_f32_e32 v118, v25, v27
	v_add_f32_e32 v104, v104, v24
	v_sub_f32_e32 v119, v19, v11
	v_add_f32_e32 v115, v76, v19
	v_fmac_f32_e32 v54, v109, v139
	v_fma_f32 v103, -0.5, v16, v61
	v_add_f32_e32 v104, v104, v78
	v_sub_f32_e32 v16, v77, v13
	v_sub_f32_e32 v109, v24, v78
	v_add3_u32 v76, 0, v5, v75
	v_add_f32_e32 v75, v115, v11
	v_add_f32_e32 v115, v104, v13
	v_fmac_f32_e32 v42, -0.5, v117
	v_add_f32_e32 v117, v118, v119
	v_add_f32_e32 v118, v77, v13
	v_sub_f32_e32 v24, v24, v77
	v_sub_f32_e32 v13, v78, v13
	v_add_f32_e32 v78, v30, v7
	v_sub_f32_e32 v112, v21, v17
	v_fmac_f32_e32 v60, -0.5, v118
	v_fmac_f32_e32 v68, v107, v133
	v_add_f32_e32 v13, v24, v13
	v_add_f32_e32 v24, v61, v30
	v_fmac_f32_e32 v61, -0.5, v78
	v_sub_f32_e32 v107, v30, v7
	v_fmac_f32_e32 v51, v108, v137
	v_fmamk_f32 v108, v16, 0xbf737871, v103
	v_fmamk_f32 v118, v112, 0xbf737871, v60
	v_sub_f32_e32 v30, v21, v30
	v_sub_f32_e32 v78, v17, v7
	v_fmac_f32_e32 v60, 0x3f737871, v112
	v_fmamk_f32 v121, v109, 0x3f737871, v61
	v_fmamk_f32 v111, v107, 0x3f737871, v79
	v_fmac_f32_e32 v79, 0xbf737871, v107
	v_sub_f32_e32 v110, v66, v73
	v_fmac_f32_e32 v108, 0xbf167918, v109
	v_sub_f32_e32 v114, v69, v71
	v_add_f32_e32 v30, v30, v78
	v_fmac_f32_e32 v61, 0xbf737871, v109
	v_fmac_f32_e32 v60, 0xbf167918, v107
	;; [unrolled: 1-line block ×5, first 2 shown]
	v_fmamk_f32 v113, v110, 0x3f737871, v106
	v_fmac_f32_e32 v111, 0x3f167918, v112
	v_fmac_f32_e32 v108, 0x3e9e377a, v15
	v_fmamk_f32 v77, v114, 0xbf737871, v42
	v_fmac_f32_e32 v42, 0x3f737871, v114
	v_fmac_f32_e32 v118, 0x3f167918, v107
	;; [unrolled: 1-line block ×10, first 2 shown]
	v_mul_f32_e32 v116, 0x3f167918, v108
	v_fmac_f32_e32 v77, 0x3f167918, v110
	v_fmac_f32_e32 v42, 0xbf167918, v110
	;; [unrolled: 1-line block ×4, first 2 shown]
	v_mul_f32_e32 v13, 0x3f737871, v121
	v_mul_f32_e32 v14, 0x3e9e377a, v60
	v_fmac_f32_e32 v106, 0xbf167918, v114
	v_fmac_f32_e32 v103, 0x3e9e377a, v15
	v_mul_f32_e32 v15, 0x3f4f1bbd, v79
	v_fmac_f32_e32 v113, 0x3e9e377a, v10
	v_fmac_f32_e32 v116, 0x3f4f1bbd, v111
	;; [unrolled: 1-line block ×5, first 2 shown]
	v_fma_f32 v14, 0x3f737871, v61, -v14
	v_fmac_f32_e32 v106, 0x3e9e377a, v10
	v_fma_f32 v10, 0x3f167918, v103, -v15
	v_add_f32_e32 v120, v75, v115
	v_add_f32_e32 v119, v113, v116
	;; [unrolled: 1-line block ×4, first 2 shown]
	v_sub_f32_e32 v13, v77, v13
	v_sub_f32_e32 v14, v42, v14
	;; [unrolled: 1-line block ×5, first 2 shown]
	v_add_f32_e32 v75, v106, v10
	v_sub_f32_e32 v78, v113, v116
	v_sub_f32_e32 v10, v106, v10
	ds_read_b32 v37, v86
	ds_read_b32 v104, v52
	;; [unrolled: 1-line block ×3, first 2 shown]
	s_waitcnt lgkmcnt(0)
	s_barrier
	buffer_gl0_inv
	ds_write2_b32 v76, v120, v119 offset1:9
	ds_write2_b32 v76, v15, v16 offset0:18 offset1:27
	ds_write2_b32 v76, v75, v30 offset0:36 offset1:45
	;; [unrolled: 1-line block ×4, first 2 shown]
	v_add_f32_e32 v10, v42, v77
	v_mul_u32_u24_sdwa v30, v72, v105 dst_sel:DWORD dst_unused:UNUSED_PAD src0_sel:WORD_0 src1_sel:DWORD
	v_lshlrev_b32_sdwa v42, v31, v74 dst_sel:DWORD dst_unused:UNUSED_PAD src0_sel:DWORD src1_sel:BYTE_0
	v_sub_f32_e32 v14, v9, v22
	v_add_f32_e32 v72, v20, v22
	v_sub_f32_e32 v75, v20, v22
	v_add_f32_e32 v119, v29, v9
	v_add3_u32 v77, 0, v30, v42
	v_add_f32_e32 v42, v40, v29
	v_add_f32_e32 v30, v65, v68
	v_sub_f32_e32 v13, v29, v20
	v_sub_f32_e32 v15, v28, v65
	;; [unrolled: 1-line block ×3, first 2 shown]
	v_add_f32_e32 v42, v42, v20
	v_fma_f32 v105, -0.5, v30, v41
	v_sub_f32_e32 v30, v29, v9
	v_fma_f32 v106, -0.5, v72, v40
	v_sub_f32_e32 v72, v28, v67
	v_add_f32_e32 v42, v42, v22
	v_sub_f32_e32 v112, v65, v68
	v_fmac_f32_e32 v40, -0.5, v119
	v_sub_f32_e32 v20, v20, v29
	v_add_f32_e32 v120, v41, v28
	v_add_f32_e32 v42, v42, v9
	v_sub_f32_e32 v9, v22, v9
	v_add_f32_e32 v22, v28, v67
	v_add_f32_e32 v15, v15, v16
	;; [unrolled: 1-line block ×3, first 2 shown]
	v_fmamk_f32 v107, v30, 0xbf737871, v105
	v_fmamk_f32 v110, v72, 0x3f737871, v106
	v_fmac_f32_e32 v41, -0.5, v22
	v_add_f32_e32 v113, v46, v70
	v_fmamk_f32 v119, v112, 0xbf737871, v40
	v_add_f32_e32 v9, v20, v9
	v_fmac_f32_e32 v40, 0x3f737871, v112
	v_sub_f32_e32 v20, v65, v28
	v_sub_f32_e32 v22, v68, v67
	v_fmamk_f32 v122, v75, 0x3f737871, v41
	v_fmac_f32_e32 v106, 0xbf737871, v72
	v_add_f32_e32 v13, v13, v14
	v_add_f32_e32 v14, v34, v46
	v_fma_f32 v16, -0.5, v16, v34
	v_sub_f32_e32 v74, v43, v62
	v_sub_f32_e32 v109, v55, v59
	v_fmac_f32_e32 v107, 0xbf167918, v75
	v_fmac_f32_e32 v34, -0.5, v113
	v_fmac_f32_e32 v40, 0xbf167918, v72
	v_fmac_f32_e32 v41, 0xbf737871, v75
	v_add_f32_e32 v20, v20, v22
	v_fmac_f32_e32 v122, 0xbf167918, v30
	v_fmac_f32_e32 v105, 0x3f737871, v30
	;; [unrolled: 1-line block ×3, first 2 shown]
	v_add_f32_e32 v14, v14, v58
	v_fmamk_f32 v78, v74, 0x3f737871, v16
	v_fmac_f32_e32 v110, 0x3f167918, v112
	v_fmac_f32_e32 v107, 0x3e9e377a, v15
	v_sub_f32_e32 v113, v58, v46
	v_sub_f32_e32 v115, v63, v70
	v_fmamk_f32 v117, v109, 0xbf737871, v34
	v_fmac_f32_e32 v34, 0x3f737871, v109
	v_fmac_f32_e32 v119, 0x3f167918, v72
	;; [unrolled: 1-line block ×8, first 2 shown]
	v_add_f32_e32 v14, v14, v63
	v_fmac_f32_e32 v78, 0x3f167918, v109
	v_fmac_f32_e32 v110, 0x3e9e377a, v13
	v_mul_f32_e32 v114, 0x3f167918, v107
	v_add_f32_e32 v113, v113, v115
	v_fmac_f32_e32 v117, 0x3f167918, v74
	v_fmac_f32_e32 v34, 0xbf167918, v74
	;; [unrolled: 1-line block ×4, first 2 shown]
	v_mul_f32_e32 v9, 0x3f737871, v122
	v_mul_f32_e32 v13, 0x3e9e377a, v40
	v_fmac_f32_e32 v16, 0xbf167918, v109
	v_fmac_f32_e32 v105, 0x3e9e377a, v15
	v_mul_f32_e32 v15, 0x3f4f1bbd, v106
	v_add_f32_e32 v14, v14, v70
	v_fmac_f32_e32 v78, 0x3e9e377a, v10
	v_fmac_f32_e32 v114, 0x3f4f1bbd, v110
	;; [unrolled: 1-line block ×5, first 2 shown]
	v_fma_f32 v13, 0x3f737871, v41, -v13
	v_fmac_f32_e32 v16, 0x3e9e377a, v10
	v_fma_f32 v10, 0x3f167918, v105, -v15
	v_add_f32_e32 v116, v14, v42
	v_add_f32_e32 v115, v78, v114
	;; [unrolled: 1-line block ×4, first 2 shown]
	v_sub_f32_e32 v14, v14, v42
	v_add_f32_e32 v22, v16, v10
	v_sub_f32_e32 v28, v78, v114
	v_sub_f32_e32 v9, v117, v9
	ds_write2_b32 v77, v116, v115 offset1:9
	ds_write2_b32 v77, v15, v20 offset0:18 offset1:27
	v_sub_f32_e32 v15, v39, v45
	v_sub_f32_e32 v20, v56, v53
	ds_write2_b32 v77, v22, v14 offset0:36 offset1:45
	ds_write2_b32 v77, v28, v9 offset0:54 offset1:63
	v_sub_f32_e32 v9, v34, v13
	v_add_f32_e32 v34, v36, v23
	v_sub_f32_e32 v10, v16, v10
	v_add_f32_e32 v13, v15, v20
	v_sub_f32_e32 v16, v26, v47
	v_sub_f32_e32 v20, v6, v51
	v_mul_u32_u24_e32 v22, 0x168, v57
	v_lshlrev_b32_sdwa v28, v31, v64 dst_sel:DWORD dst_unused:UNUSED_PAD src0_sel:DWORD src1_sel:WORD_0
	v_add_f32_e32 v34, v34, v18
	v_sub_f32_e32 v14, v23, v18
	v_sub_f32_e32 v15, v8, v12
	v_add_f32_e32 v16, v16, v20
	v_add_f32_e32 v20, v47, v51
	v_add3_u32 v78, 0, v22, v28
	v_add_f32_e32 v22, v45, v53
	v_add_f32_e32 v34, v34, v12
	;; [unrolled: 1-line block ×3, first 2 shown]
	v_sub_f32_e32 v75, v45, v39
	v_sub_f32_e32 v115, v53, v56
	v_add_f32_e32 v14, v14, v15
	v_add_f32_e32 v15, v33, v39
	;; [unrolled: 1-line block ×3, first 2 shown]
	v_fma_f32 v109, -0.5, v20, v35
	v_sub_f32_e32 v20, v23, v8
	v_fma_f32 v22, -0.5, v22, v33
	v_sub_f32_e32 v30, v18, v12
	v_add_f32_e32 v34, v34, v8
	v_fmac_f32_e32 v33, -0.5, v74
	v_add_f32_e32 v74, v75, v115
	v_add_f32_e32 v75, v23, v8
	v_sub_f32_e32 v8, v12, v8
	v_add_f32_e32 v12, v26, v6
	v_fma_f32 v112, -0.5, v28, v36
	v_sub_f32_e32 v57, v47, v51
	v_sub_f32_e32 v18, v18, v23
	v_fmac_f32_e32 v36, -0.5, v75
	v_add_f32_e32 v117, v35, v26
	v_fmac_f32_e32 v35, -0.5, v12
	v_sub_f32_e32 v28, v26, v6
	v_fmamk_f32 v113, v20, 0xbf737871, v109
	v_add_f32_e32 v8, v18, v8
	v_fmamk_f32 v116, v57, 0xbf737871, v36
	v_sub_f32_e32 v12, v47, v26
	v_sub_f32_e32 v18, v51, v6
	v_fmac_f32_e32 v36, 0x3f737871, v57
	v_fmamk_f32 v123, v30, 0x3f737871, v35
	v_fmamk_f32 v114, v28, 0x3f737871, v112
	v_fmac_f32_e32 v112, 0xbf737871, v28
	v_sub_f32_e32 v29, v38, v54
	v_fmac_f32_e32 v113, 0xbf167918, v30
	v_sub_f32_e32 v64, v44, v49
	v_add_f32_e32 v12, v12, v18
	v_fmac_f32_e32 v35, 0xbf737871, v30
	v_fmac_f32_e32 v36, 0xbf167918, v28
	;; [unrolled: 1-line block ×5, first 2 shown]
	v_add_f32_e32 v15, v15, v45
	v_fmamk_f32 v42, v29, 0x3f737871, v22
	v_fmac_f32_e32 v114, 0x3f167918, v57
	v_fmac_f32_e32 v113, 0x3e9e377a, v16
	v_fmamk_f32 v23, v64, 0xbf737871, v33
	v_fmac_f32_e32 v33, 0x3f737871, v64
	v_fmac_f32_e32 v116, 0x3f167918, v28
	;; [unrolled: 1-line block ×8, first 2 shown]
	v_add_f32_e32 v15, v15, v53
	v_fmac_f32_e32 v42, 0x3f167918, v64
	v_fmac_f32_e32 v114, 0x3e9e377a, v14
	v_mul_f32_e32 v72, 0x3f167918, v113
	v_fmac_f32_e32 v23, 0x3f167918, v29
	v_fmac_f32_e32 v33, 0xbf167918, v29
	;; [unrolled: 1-line block ×4, first 2 shown]
	v_mul_f32_e32 v8, 0x3f737871, v123
	v_mul_f32_e32 v12, 0x3e9e377a, v36
	v_fmac_f32_e32 v22, 0xbf167918, v64
	v_fmac_f32_e32 v109, 0x3e9e377a, v16
	v_mul_f32_e32 v14, 0x3f4f1bbd, v112
	v_add_f32_e32 v15, v15, v56
	v_fmac_f32_e32 v42, 0x3e9e377a, v13
	v_fmac_f32_e32 v72, 0x3f4f1bbd, v114
	;; [unrolled: 1-line block ×5, first 2 shown]
	v_fma_f32 v12, 0x3f737871, v35, -v12
	v_fmac_f32_e32 v22, 0x3e9e377a, v13
	v_fma_f32 v13, 0x3f167918, v109, -v14
	v_add_f32_e32 v115, v15, v34
	v_add_f32_e32 v14, v42, v72
	;; [unrolled: 1-line block ×4, first 2 shown]
	v_sub_f32_e32 v15, v15, v34
	v_add_f32_e32 v20, v22, v13
	v_sub_f32_e32 v26, v42, v72
	v_sub_f32_e32 v8, v23, v8
	ds_write2_b32 v77, v9, v10 offset0:72 offset1:81
	ds_write2_b32 v78, v115, v14 offset1:9
	ds_write2_b32 v78, v16, v18 offset0:18 offset1:27
	ds_write2_b32 v78, v20, v15 offset0:36 offset1:45
	;; [unrolled: 1-line block ×3, first 2 shown]
	v_sub_f32_e32 v8, v33, v12
	v_add_f32_e32 v12, v24, v21
	v_add_f32_e32 v9, v69, v71
	v_sub_f32_e32 v115, v27, v11
	v_add_f32_e32 v11, v104, v66
	v_sub_f32_e32 v10, v22, v13
	v_add_f32_e32 v12, v12, v17
	v_fma_f32 v124, -0.5, v9, v104
	v_sub_f32_e32 v9, v66, v69
	v_sub_f32_e32 v13, v73, v71
	;; [unrolled: 1-line block ×3, first 2 shown]
	v_add_f32_e32 v128, v12, v7
	v_add_f32_e32 v7, v66, v73
	;; [unrolled: 1-line block ×3, first 2 shown]
	v_fmamk_f32 v126, v115, 0xbf737871, v124
	v_add_f32_e32 v127, v9, v13
	v_sub_f32_e32 v66, v69, v66
	v_fmac_f32_e32 v104, -0.5, v7
	v_add_f32_e32 v9, v11, v71
	v_sub_f32_e32 v69, v71, v73
	v_fmac_f32_e32 v124, 0x3f737871, v115
	v_mul_f32_e32 v111, 0xbf167918, v111
	v_fmamk_f32 v71, v125, 0x3f737871, v104
	v_fmac_f32_e32 v104, 0xbf737871, v125
	v_fmac_f32_e32 v126, 0xbf167918, v125
	v_add_f32_e32 v66, v66, v69
	v_mul_f32_e32 v61, 0x3e9e377a, v61
	v_fmac_f32_e32 v71, 0xbf167918, v115
	v_fmac_f32_e32 v104, 0x3f167918, v115
	v_mul_f32_e32 v115, 0xbf737871, v118
	v_fmac_f32_e32 v124, 0x3f167918, v125
	v_mul_f32_e32 v103, 0x3f4f1bbd, v103
	v_fmac_f32_e32 v111, 0x3f4f1bbd, v108
	v_add_f32_e32 v108, v9, v73
	v_fmac_f32_e32 v126, 0x3e9e377a, v127
	v_fmac_f32_e32 v71, 0x3e9e377a, v66
	;; [unrolled: 1-line block ×4, first 2 shown]
	v_fma_f32 v60, 0xbf737871, v60, -v61
	v_fmac_f32_e32 v124, 0x3e9e377a, v127
	v_fma_f32 v61, 0xbf167918, v79, -v103
	v_add_f32_e32 v73, v108, v128
	v_add_f32_e32 v69, v126, v111
	;; [unrolled: 1-line block ×4, first 2 shown]
	v_add_nc_u32_e32 v34, 0xc00, v52
	v_sub_f32_e32 v79, v108, v128
	v_sub_f32_e32 v108, v126, v111
	v_add_f32_e32 v111, v124, v61
	v_sub_f32_e32 v71, v71, v115
	ds_write2_b32 v78, v8, v10 offset0:72 offset1:81
	s_waitcnt lgkmcnt(0)
	s_barrier
	buffer_gl0_inv
	v_add_nc_u32_e32 v33, 0x800, v52
	ds_read_b32 v74, v52
	ds_read_b32 v72, v85
	ds_read_b32 v64, v86
	ds_read_b32 v57, v100
	ds_read_b32 v75, v102
	ds_read_b32 v42, v101
	ds_read2_b32 v[27:28], v87 offset0:56 offset1:164
	ds_read2_b32 v[21:22], v95 offset0:104 offset1:212
	ds_read2_b32 v[17:18], v88 offset0:112 offset1:220
	ds_read2_b32 v[11:12], v96 offset0:32 offset1:140
	ds_read2_b32 v[23:24], v33 offset0:136 offset1:244
	ds_read2_b32 v[15:16], v91 offset0:64 offset1:172
	ds_read2_b32 v[9:10], v92 offset0:120 offset1:228
	ds_read2_b32 v[29:30], v89 offset0:16 offset1:124
	ds_read2_b32 v[19:20], v90 offset0:72 offset1:180
	ds_read2_b32 v[25:26], v34 offset0:96 offset1:204
	ds_read2_b32 v[13:14], v98 offset0:24 offset1:132
	ds_read2_b32 v[7:8], v99 offset0:80 offset1:188
	s_waitcnt lgkmcnt(0)
	s_barrier
	buffer_gl0_inv
	ds_write2_b32 v76, v73, v69 offset1:9
	ds_write2_b32 v76, v66, v103 offset0:18 offset1:27
	ds_write2_b32 v76, v111, v79 offset0:36 offset1:45
	ds_write2_b32 v76, v108, v71 offset0:54 offset1:63
	v_sub_f32_e32 v66, v43, v55
	v_sub_f32_e32 v69, v62, v59
	;; [unrolled: 1-line block ×3, first 2 shown]
	v_add_f32_e32 v63, v55, v59
	v_add_f32_e32 v65, v120, v65
	v_sub_f32_e32 v46, v46, v70
	v_add_f32_e32 v70, v5, v43
	v_add_f32_e32 v66, v66, v69
	;; [unrolled: 1-line block ×3, first 2 shown]
	v_fma_f32 v63, -0.5, v63, v5
	v_add_f32_e32 v65, v65, v68
	v_add_f32_e32 v68, v70, v55
	v_sub_f32_e32 v43, v55, v43
	v_fmac_f32_e32 v5, -0.5, v69
	v_fmamk_f32 v69, v46, 0xbf737871, v63
	v_sub_f32_e32 v55, v59, v62
	v_add_f32_e32 v68, v68, v59
	v_fmac_f32_e32 v63, 0x3f737871, v46
	v_fmamk_f32 v59, v58, 0x3f737871, v5
	v_fmac_f32_e32 v5, 0xbf737871, v58
	v_add_f32_e32 v65, v65, v67
	v_mul_f32_e32 v67, 0xbf167918, v110
	v_fmac_f32_e32 v69, 0xbf167918, v58
	v_add_f32_e32 v43, v43, v55
	v_fmac_f32_e32 v59, 0xbf167918, v46
	v_fmac_f32_e32 v5, 0x3f167918, v46
	v_mul_f32_e32 v46, 0xbf737871, v119
	v_mul_f32_e32 v41, 0x3e9e377a, v41
	v_fmac_f32_e32 v63, 0x3f167918, v58
	v_mul_f32_e32 v58, 0x3f4f1bbd, v105
	v_fmac_f32_e32 v67, 0x3f4f1bbd, v107
	v_add_f32_e32 v62, v68, v62
	v_fmac_f32_e32 v69, 0x3e9e377a, v66
	v_fmac_f32_e32 v59, 0x3e9e377a, v43
	;; [unrolled: 1-line block ×4, first 2 shown]
	v_fma_f32 v40, 0xbf737871, v40, -v41
	v_fmac_f32_e32 v63, 0x3e9e377a, v66
	v_fma_f32 v41, 0xbf167918, v106, -v58
	v_sub_f32_e32 v60, v104, v60
	v_sub_f32_e32 v61, v124, v61
	v_add_f32_e32 v55, v62, v65
	v_add_f32_e32 v43, v69, v67
	v_add_f32_e32 v58, v59, v46
	v_add_f32_e32 v66, v5, v40
	v_sub_f32_e32 v62, v62, v65
	v_add_f32_e32 v65, v63, v41
	v_sub_f32_e32 v67, v69, v67
	v_sub_f32_e32 v46, v59, v46
	ds_write2_b32 v76, v60, v61 offset0:72 offset1:81
	ds_write2_b32 v77, v55, v43 offset1:9
	ds_write2_b32 v77, v58, v66 offset0:18 offset1:27
	ds_write2_b32 v77, v65, v62 offset0:36 offset1:45
	ds_write2_b32 v77, v67, v46 offset0:54 offset1:63
	v_sub_f32_e32 v5, v5, v40
	v_sub_f32_e32 v40, v63, v41
	;; [unrolled: 1-line block ×5, first 2 shown]
	v_add_f32_e32 v55, v44, v49
	v_add_f32_e32 v56, v38, v54
	;; [unrolled: 1-line block ×3, first 2 shown]
	v_sub_f32_e32 v45, v45, v53
	v_add_f32_e32 v41, v41, v46
	v_fma_f32 v46, -0.5, v55, v37
	v_fmac_f32_e32 v37, -0.5, v56
	v_add_f32_e32 v43, v43, v44
	v_sub_f32_e32 v38, v44, v38
	v_sub_f32_e32 v44, v49, v54
	v_add_f32_e32 v47, v117, v47
	v_fmamk_f32 v53, v45, 0x3f737871, v37
	v_fmac_f32_e32 v37, 0xbf737871, v45
	v_add_f32_e32 v43, v43, v49
	v_fmamk_f32 v49, v39, 0xbf737871, v46
	v_fmac_f32_e32 v46, 0x3f737871, v39
	v_add_f32_e32 v38, v38, v44
	v_fmac_f32_e32 v53, 0xbf167918, v39
	v_fmac_f32_e32 v37, 0x3f167918, v39
	v_mul_f32_e32 v35, 0x3e9e377a, v35
	v_add_f32_e32 v39, v47, v51
	v_fmac_f32_e32 v49, 0xbf167918, v45
	v_fmac_f32_e32 v46, 0x3f167918, v45
	;; [unrolled: 1-line block ×3, first 2 shown]
	v_mul_f32_e32 v44, 0xbf167918, v114
	v_fmac_f32_e32 v37, 0x3e9e377a, v38
	v_mul_f32_e32 v38, 0xbf737871, v116
	v_fma_f32 v35, 0xbf737871, v36, -v35
	v_add_nc_u32_e32 v36, 0xffffffa6, v80
	v_add_f32_e32 v6, v39, v6
	v_mul_f32_e32 v39, 0x3f4f1bbd, v109
	v_add_f32_e32 v43, v43, v54
	v_fmac_f32_e32 v49, 0x3e9e377a, v41
	v_fmac_f32_e32 v46, 0x3e9e377a, v41
	;; [unrolled: 1-line block ×4, first 2 shown]
	v_cndmask_b32_e64 v41, v36, v80, s0
	v_fma_f32 v39, 0xbf167918, v112, -v39
	v_add_f32_e32 v45, v43, v6
	v_sub_f32_e32 v43, v43, v6
	v_add_f32_e32 v47, v49, v44
	v_sub_f32_e32 v44, v49, v44
	v_add_f32_e32 v49, v53, v38
	ds_write2_b32 v77, v5, v40 offset0:72 offset1:81
	v_mul_i32_i24_e32 v5, 5, v41
	v_mov_b32_e32 v6, 0
	v_add_f32_e32 v51, v37, v35
	v_lshrrev_b16 v40, 14, v32
	v_sub_f32_e32 v38, v53, v38
	v_add_f32_e32 v53, v46, v39
	v_sub_f32_e32 v37, v37, v35
	ds_write2_b32 v78, v45, v47 offset1:9
	v_lshlrev_b64 v[35:36], 3, v[5:6]
	v_sub_f32_e32 v5, v46, v39
	v_mov_b32_e32 v32, 0x2d83
	ds_write2_b32 v78, v49, v51 offset0:18 offset1:27
	ds_write2_b32 v78, v53, v43 offset0:36 offset1:45
	;; [unrolled: 1-line block ×3, first 2 shown]
	v_mul_lo_u16 v38, 0x5a, v40
	ds_write2_b32 v78, v37, v5 offset0:72 offset1:81
	v_mul_u32_u24_sdwa v39, v82, v32 dst_sel:DWORD dst_unused:UNUSED_PAD src0_sel:WORD_0 src1_sel:DWORD
	v_mov_b32_e32 v5, 5
	v_sub_nc_u16 v61, v81, v38
	v_add_co_u32 v58, s0, s12, v35
	v_add_co_ci_u32_e64 v59, s0, s13, v36, s0
	v_lshrrev_b32_e32 v39, 20, v39
	v_mul_u32_u24_sdwa v35, v83, v32 dst_sel:DWORD dst_unused:UNUSED_PAD src0_sel:WORD_0 src1_sel:DWORD
	v_mul_u32_u24_sdwa v36, v61, v5 dst_sel:DWORD dst_unused:UNUSED_PAD src0_sel:BYTE_0 src1_sel:DWORD
	s_waitcnt lgkmcnt(0)
	s_barrier
	v_mul_lo_u16 v37, 0x5a, v39
	buffer_gl0_inv
	global_load_dwordx4 v[43:46], v[58:59], off offset:696
	v_lshrrev_b32_e32 v38, 20, v35
	v_lshlrev_b32_e32 v36, 3, v36
	v_sub_nc_u16 v56, v82, v37
	v_mul_u32_u24_sdwa v32, v84, v32 dst_sel:DWORD dst_unused:UNUSED_PAD src0_sel:WORD_0 src1_sel:DWORD
	v_cmp_lt_u32_e64 s0, 0x59, v80
	v_mul_lo_u16 v35, 0x5a, v38
	global_load_dwordx4 v[76:79], v36, s[12:13] offset:696
	v_mul_u32_u24_sdwa v37, v56, v5 dst_sel:DWORD dst_unused:UNUSED_PAD src0_sel:WORD_0 src1_sel:DWORD
	v_lshrrev_b32_e32 v32, 20, v32
	v_lshlrev_b32_sdwa v61, v31, v61 dst_sel:DWORD dst_unused:UNUSED_PAD src0_sel:DWORD src1_sel:BYTE_0
	v_sub_nc_u16 v54, v83, v35
	v_lshlrev_b32_e32 v37, 3, v37
	v_mul_lo_u16 v35, 0x5a, v32
	v_mul_u32_u24_sdwa v47, v54, v5 dst_sel:DWORD dst_unused:UNUSED_PAD src0_sel:WORD_0 src1_sel:DWORD
	global_load_dwordx4 v[104:107], v37, s[12:13] offset:696
	v_sub_nc_u16 v35, v84, v35
	v_lshlrev_b32_e32 v47, 3, v47
	v_mul_u32_u24_sdwa v5, v35, v5 dst_sel:DWORD dst_unused:UNUSED_PAD src0_sel:WORD_0 src1_sel:DWORD
	global_load_dwordx4 v[108:111], v47, s[12:13] offset:696
	v_lshlrev_b32_e32 v5, 3, v5
	s_clause 0xa
	global_load_dwordx4 v[112:115], v5, s[12:13] offset:696
	global_load_dwordx4 v[116:119], v[58:59], off offset:712
	global_load_dwordx4 v[120:123], v36, s[12:13] offset:712
	global_load_dwordx4 v[124:127], v37, s[12:13] offset:712
	;; [unrolled: 1-line block ×4, first 2 shown]
	global_load_dwordx2 v[136:137], v[58:59], off offset:728
	global_load_dwordx2 v[138:139], v36, s[12:13] offset:728
	global_load_dwordx2 v[140:141], v37, s[12:13] offset:728
	;; [unrolled: 1-line block ×4, first 2 shown]
	ds_read_b32 v47, v102
	ds_read2_b32 v[36:37], v87 offset0:56 offset1:164
	ds_read2_b32 v[65:66], v33 offset0:136 offset1:244
	ds_read_b32 v5, v101
	ds_read2_b32 v[146:147], v89 offset0:16 offset1:124
	ds_read2_b32 v[148:149], v34 offset0:96 offset1:204
	s_waitcnt vmcnt(14) lgkmcnt(5)
	v_mul_f32_e32 v49, v47, v44
	v_mul_f32_e32 v71, v75, v44
	s_waitcnt lgkmcnt(4)
	v_mul_f32_e32 v44, v36, v46
	v_mul_f32_e32 v103, v27, v46
	v_fma_f32 v68, v75, v43, -v49
	v_fmac_f32_e32 v71, v47, v43
	v_fma_f32 v27, v27, v45, -v44
	s_waitcnt vmcnt(13) lgkmcnt(3)
	v_mul_f32_e32 v44, v65, v77
	v_mul_f32_e32 v63, v23, v77
	;; [unrolled: 1-line block ×4, first 2 shown]
	v_fmac_f32_e32 v103, v36, v45
	v_fma_f32 v58, v23, v76, -v44
	v_fmac_f32_e32 v63, v65, v76
	ds_read2_b32 v[75:76], v95 offset0:104 offset1:212
	v_fma_f32 v69, v28, v78, -v43
	v_fmac_f32_e32 v70, v37, v78
	s_waitcnt vmcnt(12)
	v_mul_f32_e32 v23, v66, v105
	s_waitcnt lgkmcnt(2)
	v_mul_f32_e32 v28, v146, v107
	v_mul_f32_e32 v53, v24, v105
	;; [unrolled: 1-line block ×3, first 2 shown]
	v_fma_f32 v51, v24, v104, -v23
	v_fma_f32 v59, v29, v106, -v28
	ds_read2_b32 v[23:24], v88 offset0:112 offset1:220
	s_waitcnt vmcnt(11)
	v_mul_f32_e32 v36, v147, v111
	s_waitcnt lgkmcnt(2)
	v_mul_f32_e32 v28, v148, v109
	s_waitcnt vmcnt(10)
	v_mul_f32_e32 v29, v149, v113
	v_mul_f32_e32 v46, v25, v109
	;; [unrolled: 1-line block ×3, first 2 shown]
	v_fma_f32 v49, v30, v110, -v36
	v_fma_f32 v43, v25, v108, -v28
	;; [unrolled: 1-line block ×3, first 2 shown]
	ds_read2_b32 v[25:26], v91 offset0:64 offset1:172
	s_waitcnt lgkmcnt(2)
	v_mul_f32_e32 v28, v75, v115
	v_fmac_f32_e32 v53, v66, v104
	v_mul_f32_e32 v47, v30, v111
	s_waitcnt vmcnt(9)
	v_mul_f32_e32 v30, v76, v117
	ds_read2_b32 v[104:105], v98 offset0:24 offset1:132
	v_fma_f32 v45, v21, v114, -v28
	ds_read2_b32 v[28:29], v90 offset0:72 offset1:180
	v_fmac_f32_e32 v60, v146, v106
	v_mul_f32_e32 v44, v21, v115
	v_mul_f32_e32 v106, v22, v117
	v_fma_f32 v30, v22, v116, -v30
	s_waitcnt lgkmcnt(3)
	v_mul_f32_e32 v22, v23, v119
	v_mul_f32_e32 v21, v17, v119
	s_waitcnt vmcnt(8)
	v_mul_f32_e32 v55, v24, v123
	v_mul_f32_e32 v77, v18, v123
	v_mul_f32_e32 v107, v15, v121
	v_fma_f32 v17, v17, v118, -v22
	v_fmac_f32_e32 v21, v23, v118
	v_fma_f32 v78, v18, v122, -v55
	s_waitcnt lgkmcnt(2)
	v_mul_f32_e32 v18, v25, v121
	ds_read2_b32 v[22:23], v96 offset0:32 offset1:140
	v_fmac_f32_e32 v77, v24, v122
	s_waitcnt vmcnt(7)
	v_mul_f32_e32 v24, v26, v125
	v_fmac_f32_e32 v47, v147, v110
	v_fma_f32 v109, v15, v120, -v18
	v_fmac_f32_e32 v46, v148, v108
	s_waitcnt lgkmcnt(1)
	v_mul_f32_e32 v15, v28, v127
	v_fmac_f32_e32 v44, v75, v114
	v_fmac_f32_e32 v106, v76, v116
	v_mul_f32_e32 v108, v16, v125
	v_fma_f32 v110, v16, v124, -v24
	v_mul_f32_e32 v75, v19, v127
	s_waitcnt vmcnt(6)
	v_mul_f32_e32 v16, v29, v131
	v_fma_f32 v76, v19, v126, -v15
	ds_read2_b32 v[18:19], v92 offset0:120 offset1:228
	v_mul_f32_e32 v24, v104, v129
	v_fmac_f32_e32 v107, v25, v120
	v_fma_f32 v67, v20, v130, -v16
	v_fmac_f32_e32 v108, v26, v124
	v_mul_f32_e32 v65, v20, v131
	v_fma_f32 v16, v13, v128, -v24
	ds_read2_b32 v[24:25], v99 offset0:80 offset1:188
	s_waitcnt vmcnt(5) lgkmcnt(2)
	v_mul_f32_e32 v26, v22, v135
	v_mul_f32_e32 v15, v13, v129
	;; [unrolled: 1-line block ×5, first 2 shown]
	v_fma_f32 v62, v11, v134, -v26
	s_waitcnt vmcnt(4)
	v_mul_f32_e32 v11, v12, v137
	v_fmac_f32_e32 v15, v104, v128
	v_fma_f32 v14, v14, v132, -v20
	v_mul_f32_e32 v20, v23, v137
	v_fmac_f32_e32 v55, v22, v134
	s_waitcnt vmcnt(3)
	v_mul_f32_e32 v104, v9, v139
	s_waitcnt lgkmcnt(1)
	v_mul_f32_e32 v22, v18, v139
	v_fmac_f32_e32 v11, v23, v136
	s_waitcnt vmcnt(2)
	v_mul_f32_e32 v79, v10, v141
	v_fma_f32 v12, v12, v136, -v20
	v_mul_f32_e32 v20, v19, v141
	v_fma_f32 v22, v9, v138, -v22
	v_fmac_f32_e32 v104, v18, v138
	s_waitcnt vmcnt(1) lgkmcnt(0)
	v_mul_f32_e32 v9, v24, v143
	s_waitcnt vmcnt(0)
	v_mul_f32_e32 v18, v25, v145
	v_fmac_f32_e32 v79, v19, v140
	v_add_f32_e32 v19, v106, v11
	v_mul_f32_e32 v73, v7, v143
	v_mul_f32_e32 v66, v8, v145
	v_fma_f32 v9, v7, v142, -v9
	v_fma_f32 v8, v8, v144, -v18
	v_add_f32_e32 v18, v30, v12
	v_add_f32_e32 v7, v71, v106
	v_fmac_f32_e32 v71, -0.5, v19
	v_sub_f32_e32 v19, v30, v12
	v_fma_f32 v10, v10, v140, -v20
	v_fmac_f32_e32 v73, v24, v142
	v_add_f32_e32 v20, v27, v17
	v_add_f32_e32 v23, v68, v30
	v_fmac_f32_e32 v68, -0.5, v18
	v_sub_f32_e32 v18, v106, v11
	v_fmamk_f32 v24, v19, 0xbf5db3d7, v71
	v_fmac_f32_e32 v65, v29, v130
	v_fmac_f32_e32 v66, v25, v144
	v_add_f32_e32 v25, v74, v27
	v_fmamk_f32 v29, v18, 0x3f5db3d7, v68
	v_mul_f32_e32 v30, 0x3f5db3d7, v24
	v_fmac_f32_e32 v74, -0.5, v20
	v_add_f32_e32 v12, v23, v12
	v_sub_f32_e32 v23, v103, v21
	v_fmac_f32_e32 v75, v28, v126
	v_lshlrev_b32_e32 v26, 2, v41
	v_cndmask_b32_e64 v28, 0, 0x870, s0
	v_add_f32_e32 v20, v25, v17
	v_fmac_f32_e32 v30, 0.5, v29
	v_fmac_f32_e32 v68, 0xbf5db3d7, v18
	v_fmamk_f32 v18, v23, 0x3f5db3d7, v74
	v_fmac_f32_e32 v74, 0xbf5db3d7, v23
	v_add_f32_e32 v23, v107, v104
	v_fmac_f32_e32 v13, v105, v132
	v_add3_u32 v105, 0, v28, v26
	v_add_f32_e32 v25, v20, v12
	v_add_f32_e32 v26, v18, v30
	;; [unrolled: 1-line block ×4, first 2 shown]
	v_fmac_f32_e32 v63, -0.5, v23
	v_sub_f32_e32 v23, v109, v22
	v_fmac_f32_e32 v37, v149, v112
	ds_read_b32 v106, v52
	ds_read_b32 v111, v85
	;; [unrolled: 1-line block ×4, first 2 shown]
	s_waitcnt lgkmcnt(0)
	s_barrier
	buffer_gl0_inv
	ds_write2_b32 v105, v25, v26 offset1:90
	v_sub_f32_e32 v18, v18, v30
	v_add_f32_e32 v25, v69, v78
	v_add_f32_e32 v30, v58, v109
	v_fmac_f32_e32 v58, -0.5, v28
	v_mov_b32_e32 v28, 0x870
	v_sub_f32_e32 v41, v107, v104
	v_fmamk_f32 v107, v23, 0xbf5db3d7, v63
	v_fmac_f32_e32 v71, 0x3f5db3d7, v19
	v_mul_f32_e32 v19, -0.5, v68
	v_add_f32_e32 v26, v72, v69
	v_fmac_f32_e32 v72, -0.5, v25
	v_add_f32_e32 v22, v30, v22
	v_mul_u32_u24_sdwa v25, v40, v28 dst_sel:DWORD dst_unused:UNUSED_PAD src0_sel:WORD_0 src1_sel:DWORD
	v_fmamk_f32 v40, v41, 0x3f5db3d7, v58
	v_mul_f32_e32 v28, 0x3f5db3d7, v107
	v_sub_f32_e32 v30, v70, v77
	v_fmac_f32_e32 v19, 0x3f5db3d7, v71
	v_fmac_f32_e32 v58, 0xbf5db3d7, v41
	v_add_f32_e32 v26, v26, v78
	v_fmac_f32_e32 v28, 0.5, v40
	v_fmamk_f32 v41, v30, 0x3f5db3d7, v72
	v_sub_f32_e32 v12, v20, v12
	v_add_f32_e32 v20, v74, v19
	v_add_nc_u32_e32 v114, 0x200, v105
	v_sub_f32_e32 v19, v74, v19
	v_add_nc_u32_e32 v74, 0x400, v105
	v_add3_u32 v61, 0, v25, v61
	v_add_f32_e32 v25, v26, v22
	v_add_f32_e32 v109, v41, v28
	v_fmac_f32_e32 v63, 0x3f5db3d7, v23
	v_mul_f32_e32 v23, -0.5, v58
	ds_write2_b32 v114, v20, v12 offset0:52 offset1:142
	ds_write2_b32 v74, v18, v19 offset0:104 offset1:194
	ds_write2_b32 v61, v25, v109 offset1:90
	v_sub_f32_e32 v12, v26, v22
	v_add_f32_e32 v22, v108, v79
	v_fmac_f32_e32 v72, 0xbf5db3d7, v30
	v_fmac_f32_e32 v23, 0x3f5db3d7, v63
	v_add_f32_e32 v25, v110, v10
	v_add_f32_e32 v116, v53, v108
	v_fmac_f32_e32 v53, -0.5, v22
	v_sub_f32_e32 v22, v110, v10
	v_add_f32_e32 v18, v72, v23
	v_sub_f32_e32 v19, v41, v28
	v_sub_f32_e32 v20, v72, v23
	v_add_f32_e32 v23, v59, v76
	v_add_f32_e32 v28, v51, v110
	v_fmac_f32_e32 v51, -0.5, v25
	v_sub_f32_e32 v25, v108, v79
	v_fmamk_f32 v108, v22, 0xbf5db3d7, v53
	v_add_f32_e32 v26, v64, v59
	v_fmac_f32_e32 v64, -0.5, v23
	v_mul_u32_u24_e32 v23, 0x870, v39
	v_fmamk_f32 v39, v25, 0x3f5db3d7, v51
	v_fmac_f32_e32 v51, 0xbf5db3d7, v25
	v_add_f32_e32 v10, v28, v10
	v_mul_f32_e32 v28, 0x3f5db3d7, v108
	v_sub_f32_e32 v30, v60, v75
	v_fmac_f32_e32 v53, 0x3f5db3d7, v22
	v_mul_f32_e32 v22, -0.5, v51
	v_lshlrev_b32_sdwa v41, v31, v56 dst_sel:DWORD dst_unused:UNUSED_PAD src0_sel:DWORD src1_sel:WORD_0
	v_add_f32_e32 v25, v26, v76
	v_fmac_f32_e32 v28, 0.5, v39
	v_fmamk_f32 v26, v30, 0x3f5db3d7, v64
	v_add_nc_u32_e32 v109, 0x200, v61
	v_fmac_f32_e32 v64, 0xbf5db3d7, v30
	v_fmac_f32_e32 v22, 0x3f5db3d7, v53
	v_add_nc_u32_e32 v72, 0x400, v61
	v_add3_u32 v56, 0, v23, v41
	v_add_f32_e32 v23, v25, v10
	v_add_f32_e32 v41, v26, v28
	ds_write2_b32 v109, v18, v12 offset0:52 offset1:142
	ds_write2_b32 v72, v19, v20 offset0:104 offset1:194
	ds_write2_b32 v56, v23, v41 offset1:90
	v_add_f32_e32 v12, v64, v22
	v_sub_f32_e32 v19, v64, v22
	v_add_f32_e32 v22, v15, v73
	v_sub_f32_e32 v10, v25, v10
	;; [unrolled: 2-line block ×3, first 2 shown]
	v_add_f32_e32 v26, v43, v16
	v_add_f32_e32 v117, v46, v15
	v_fmac_f32_e32 v46, -0.5, v22
	v_sub_f32_e32 v16, v16, v9
	v_fmac_f32_e32 v43, -0.5, v25
	v_sub_f32_e32 v15, v15, v73
	v_add_f32_e32 v20, v49, v67
	v_add_f32_e32 v23, v57, v49
	v_fmamk_f32 v118, v16, 0xbf5db3d7, v46
	v_sub_f32_e32 v25, v47, v65
	v_fmamk_f32 v119, v15, 0x3f5db3d7, v43
	v_fmac_f32_e32 v43, 0xbf5db3d7, v15
	v_fmac_f32_e32 v57, -0.5, v20
	v_mul_f32_e32 v22, 0x3f5db3d7, v118
	v_mul_u32_u24_e32 v20, 0x870, v38
	v_lshlrev_b32_sdwa v15, v31, v54 dst_sel:DWORD dst_unused:UNUSED_PAD src0_sel:DWORD src1_sel:WORD_0
	v_fmac_f32_e32 v46, 0x3f5db3d7, v16
	v_mul_f32_e32 v16, -0.5, v43
	v_add_f32_e32 v9, v26, v9
	v_add_f32_e32 v23, v23, v67
	v_fmac_f32_e32 v22, 0.5, v119
	v_fmamk_f32 v26, v25, 0x3f5db3d7, v57
	v_fmac_f32_e32 v57, 0xbf5db3d7, v25
	v_fmac_f32_e32 v16, 0x3f5db3d7, v46
	v_add3_u32 v54, 0, v20, v15
	v_add_nc_u32_e32 v110, 0x200, v56
	v_add_nc_u32_e32 v64, 0x400, v56
	v_add_f32_e32 v15, v23, v9
	v_add_f32_e32 v20, v26, v22
	v_sub_f32_e32 v9, v23, v9
	v_add_f32_e32 v23, v57, v16
	v_add_nc_u32_e32 v120, 0x200, v54
	v_sub_f32_e32 v22, v26, v22
	v_sub_f32_e32 v16, v57, v16
	v_add_nc_u32_e32 v57, 0x400, v54
	ds_write2_b32 v110, v12, v10 offset0:52 offset1:142
	ds_write2_b32 v64, v18, v19 offset0:104 offset1:194
	ds_write2_b32 v54, v15, v20 offset1:90
	ds_write2_b32 v120, v23, v9 offset0:52 offset1:142
	ds_write2_b32 v57, v22, v16 offset0:104 offset1:194
	v_add_f32_e32 v10, v13, v66
	v_add_f32_e32 v15, v14, v8
	;; [unrolled: 1-line block ×5, first 2 shown]
	v_fmac_f32_e32 v37, -0.5, v10
	v_sub_f32_e32 v10, v14, v8
	v_fmac_f32_e32 v36, -0.5, v15
	v_sub_f32_e32 v13, v13, v66
	v_add_f32_e32 v12, v42, v45
	v_fmac_f32_e32 v42, -0.5, v9
	v_fmamk_f32 v122, v10, 0xbf5db3d7, v37
	v_sub_f32_e32 v15, v44, v55
	v_fmamk_f32 v123, v13, 0x3f5db3d7, v36
	v_fmac_f32_e32 v36, 0xbf5db3d7, v13
	v_add_f32_e32 v8, v16, v8
	v_mul_f32_e32 v14, 0x3f5db3d7, v122
	v_lshlrev_b32_sdwa v9, v31, v35 dst_sel:DWORD dst_unused:UNUSED_PAD src0_sel:DWORD src1_sel:WORD_0
	v_mul_u32_u24_e32 v13, 0x870, v32
	v_fmac_f32_e32 v37, 0x3f5db3d7, v10
	v_mul_f32_e32 v10, -0.5, v36
	v_add_f32_e32 v12, v12, v62
	v_fmac_f32_e32 v14, 0.5, v123
	v_fmamk_f32 v16, v15, 0x3f5db3d7, v42
	v_fmac_f32_e32 v42, 0xbf5db3d7, v15
	v_fmac_f32_e32 v10, 0x3f5db3d7, v37
	v_add3_u32 v124, 0, v13, v9
	v_add_f32_e32 v9, v12, v8
	v_add_f32_e32 v13, v16, v14
	v_sub_f32_e32 v8, v12, v8
	v_add_f32_e32 v12, v42, v10
	v_add_nc_u32_e32 v125, 0x200, v124
	v_sub_f32_e32 v14, v16, v14
	ds_write2_b32 v124, v9, v13 offset1:90
	v_add_f32_e32 v9, v106, v103
	v_add_f32_e32 v13, v103, v21
	v_mul_f32_e32 v103, 0xbf5db3d7, v29
	v_sub_f32_e32 v10, v42, v10
	v_add_nc_u32_e32 v126, 0x400, v124
	ds_write2_b32 v125, v12, v8 offset0:52 offset1:142
	ds_write2_b32 v126, v14, v10 offset0:104 offset1:194
	v_add_f32_e32 v127, v9, v21
	v_fmac_f32_e32 v106, -0.5, v13
	v_sub_f32_e32 v128, v27, v17
	v_add_f32_e32 v129, v7, v11
	v_fmac_f32_e32 v103, 0.5, v24
	s_waitcnt lgkmcnt(0)
	s_barrier
	buffer_gl0_inv
	ds_read_b32 v42, v102
	ds_read_b32 v38, v101
	;; [unrolled: 1-line block ×6, first 2 shown]
	ds_read2_b32 v[15:16], v87 offset0:56 offset1:164
	ds_read2_b32 v[9:10], v95 offset0:104 offset1:212
	;; [unrolled: 1-line block ×12, first 2 shown]
	v_mul_f32_e32 v71, -0.5, v71
	v_add_f32_e32 v102, v70, v77
	v_mul_f32_e32 v40, 0xbf5db3d7, v40
	v_sub_f32_e32 v69, v69, v78
	v_fmamk_f32 v100, v128, 0xbf5db3d7, v106
	v_fmac_f32_e32 v71, 0xbf5db3d7, v68
	v_add_f32_e32 v68, v111, v70
	v_fmac_f32_e32 v111, -0.5, v102
	v_fmac_f32_e32 v106, 0x3f5db3d7, v128
	v_fmac_f32_e32 v40, 0.5, v107
	v_add_f32_e32 v101, v127, v129
	v_add_f32_e32 v68, v68, v77
	;; [unrolled: 1-line block ×3, first 2 shown]
	v_fmamk_f32 v78, v69, 0xbf5db3d7, v111
	v_add_f32_e32 v130, v100, v103
	v_add_f32_e32 v102, v106, v71
	v_sub_f32_e32 v100, v100, v103
	v_sub_f32_e32 v71, v106, v71
	;; [unrolled: 1-line block ×3, first 2 shown]
	v_add_f32_e32 v103, v68, v77
	v_add_f32_e32 v104, v78, v40
	s_waitcnt lgkmcnt(0)
	s_barrier
	buffer_gl0_inv
	ds_write2_b32 v105, v101, v130 offset1:90
	ds_write2_b32 v114, v102, v70 offset0:52 offset1:142
	ds_write2_b32 v74, v100, v71 offset0:104 offset1:194
	ds_write2_b32 v61, v103, v104 offset1:90
	v_add_f32_e32 v61, v60, v75
	v_mul_f32_e32 v63, -0.5, v63
	v_add_f32_e32 v60, v112, v60
	v_mul_f32_e32 v39, 0xbf5db3d7, v39
	v_sub_f32_e32 v59, v59, v76
	v_fmac_f32_e32 v112, -0.5, v61
	v_fmac_f32_e32 v111, 0x3f5db3d7, v69
	v_fmac_f32_e32 v63, 0xbf5db3d7, v58
	v_mul_f32_e32 v53, -0.5, v53
	v_sub_f32_e32 v58, v68, v77
	v_add_f32_e32 v60, v60, v75
	v_add_f32_e32 v68, v116, v79
	v_fmac_f32_e32 v39, 0.5, v108
	v_fmamk_f32 v69, v59, 0xbf5db3d7, v112
	v_add_f32_e32 v61, v111, v63
	v_sub_f32_e32 v40, v78, v40
	v_sub_f32_e32 v63, v111, v63
	v_fmac_f32_e32 v112, 0x3f5db3d7, v59
	v_fmac_f32_e32 v53, 0xbf5db3d7, v51
	v_add_f32_e32 v51, v47, v65
	v_add_f32_e32 v70, v60, v68
	;; [unrolled: 1-line block ×3, first 2 shown]
	ds_write2_b32 v109, v61, v58 offset0:52 offset1:142
	ds_write2_b32 v72, v40, v63 offset0:104 offset1:194
	ds_write2_b32 v56, v70, v71 offset1:90
	v_sub_f32_e32 v40, v60, v68
	v_add_f32_e32 v56, v112, v53
	v_add_f32_e32 v47, v113, v47
	v_fmac_f32_e32 v113, -0.5, v51
	v_sub_f32_e32 v49, v49, v67
	v_sub_f32_e32 v39, v69, v39
	v_sub_f32_e32 v53, v112, v53
	ds_write2_b32 v110, v56, v40 offset0:52 offset1:142
	ds_write2_b32 v64, v39, v53 offset0:104 offset1:194
	v_add_f32_e32 v39, v47, v65
	v_fmamk_f32 v47, v49, 0xbf5db3d7, v113
	v_mul_f32_e32 v46, -0.5, v46
	v_add_f32_e32 v51, v117, v73
	v_fmac_f32_e32 v113, 0x3f5db3d7, v49
	v_add_f32_e32 v49, v44, v55
	v_mul_f32_e32 v40, 0xbf5db3d7, v119
	v_fmac_f32_e32 v46, 0xbf5db3d7, v43
	v_add_f32_e32 v43, v39, v51
	v_sub_f32_e32 v39, v39, v51
	v_add_f32_e32 v44, v5, v44
	v_fmac_f32_e32 v5, -0.5, v49
	v_sub_f32_e32 v45, v45, v62
	v_mul_f32_e32 v51, 0xbf5db3d7, v123
	v_mul_f32_e32 v37, -0.5, v37
	v_fmac_f32_e32 v40, 0.5, v118
	v_add_f32_e32 v44, v44, v55
	v_add_f32_e32 v53, v121, v66
	v_fmamk_f32 v55, v45, 0xbf5db3d7, v5
	v_fmac_f32_e32 v51, 0.5, v122
	v_fmac_f32_e32 v5, 0x3f5db3d7, v45
	v_fmac_f32_e32 v37, 0xbf5db3d7, v36
	v_add_f32_e32 v49, v47, v40
	v_sub_f32_e32 v40, v47, v40
	v_add_f32_e32 v47, v113, v46
	v_sub_f32_e32 v46, v113, v46
	v_add_f32_e32 v36, v44, v53
	v_add_f32_e32 v45, v55, v51
	v_sub_f32_e32 v44, v44, v53
	v_add_f32_e32 v53, v5, v37
	v_sub_f32_e32 v51, v55, v51
	v_sub_f32_e32 v5, v5, v37
	ds_write2_b32 v54, v43, v49 offset1:90
	ds_write2_b32 v120, v47, v39 offset0:52 offset1:142
	ds_write2_b32 v57, v40, v46 offset0:104 offset1:194
	ds_write2_b32 v124, v36, v45 offset1:90
	ds_write2_b32 v125, v53, v44 offset0:52 offset1:142
	ds_write2_b32 v126, v51, v5 offset0:104 offset1:194
	s_waitcnt lgkmcnt(0)
	s_barrier
	buffer_gl0_inv
	s_and_saveexec_b32 s0, vcc_lo
	s_cbranch_execz .LBB0_15
; %bb.14:
	v_mul_u32_u24_e32 v36, 5, v80
	v_mul_i32_i24_e32 v5, 5, v84
	v_sub_nc_u32_e32 v51, 0, v97
	v_mul_lo_u32 v79, s5, v3
	v_mul_lo_u32 v120, s4, v4
	v_lshlrev_b32_e32 v39, 3, v36
	v_lshlrev_b64 v[36:37], 3, v[5:6]
	v_add_co_u32 v5, s0, s12, v39
	v_add_co_ci_u32_e64 v40, null, s13, 0, s0
	v_add_co_u32 v47, vcc_lo, s12, v36
	v_add_co_ci_u32_e32 v49, vcc_lo, s13, v37, vcc_lo
	v_add_co_u32 v36, vcc_lo, 0x10c8, v5
	v_add_co_ci_u32_e32 v37, vcc_lo, 0, v40, vcc_lo
	;; [unrolled: 2-line block ×4, first 2 shown]
	s_clause 0x1
	global_load_dwordx4 v[43:46], v[39:40], off offset:200
	global_load_dwordx4 v[53:56], v[36:37], off offset:16
	v_add_co_u32 v39, vcc_lo, 0x10c8, v47
	v_mul_i32_i24_e32 v5, 5, v83
	v_add_co_ci_u32_e32 v40, vcc_lo, 0, v49, vcc_lo
	s_clause 0x2
	global_load_dwordx2 v[77:78], v[36:37], off offset:32
	global_load_dwordx4 v[57:60], v[57:58], off offset:200
	global_load_dwordx4 v[61:64], v[39:40], off offset:16
	v_lshlrev_b64 v[36:37], 3, v[5:6]
	global_load_dwordx2 v[39:40], v[39:40], off offset:32
	v_add_co_u32 v5, vcc_lo, s12, v36
	v_add_co_ci_u32_e32 v47, vcc_lo, s13, v37, vcc_lo
	v_add_co_u32 v36, vcc_lo, 0x1000, v5
	v_add_co_ci_u32_e32 v37, vcc_lo, 0, v47, vcc_lo
	v_add_co_u32 v73, vcc_lo, 0x10c8, v5
	v_mul_i32_i24_e32 v5, 5, v82
	v_add_co_ci_u32_e32 v74, vcc_lo, 0, v47, vcc_lo
	s_clause 0x2
	global_load_dwordx4 v[65:68], v[36:37], off offset:200
	global_load_dwordx4 v[69:72], v[73:74], off offset:16
	global_load_dwordx2 v[36:37], v[73:74], off offset:32
	v_lshlrev_b64 v[73:74], 3, v[5:6]
	v_add_co_u32 v5, vcc_lo, s12, v73
	v_add_co_ci_u32_e32 v47, vcc_lo, s13, v74, vcc_lo
	v_add_co_u32 v73, vcc_lo, 0x1000, v5
	v_add_co_ci_u32_e32 v74, vcc_lo, 0, v47, vcc_lo
	v_add_co_u32 v82, vcc_lo, 0x10c8, v5
	v_mul_i32_i24_e32 v5, 5, v81
	v_add_co_ci_u32_e32 v83, vcc_lo, 0, v47, vcc_lo
	s_clause 0x2
	global_load_dwordx4 v[73:76], v[73:74], off offset:200
	global_load_dwordx4 v[100:103], v[82:83], off offset:16
	global_load_dwordx2 v[108:109], v[82:83], off offset:32
	v_lshlrev_b64 v[5:6], 3, v[5:6]
	v_add_co_u32 v47, vcc_lo, s12, v5
	v_add_co_ci_u32_e32 v49, vcc_lo, s13, v6, vcc_lo
	v_add_co_u32 v5, vcc_lo, 0x1000, v47
	v_add_co_ci_u32_e32 v6, vcc_lo, 0, v49, vcc_lo
	;; [unrolled: 2-line block ×3, first 2 shown]
	s_clause 0x2
	global_load_dwordx4 v[81:84], v[5:6], off offset:200
	global_load_dwordx4 v[104:107], v[110:111], off offset:16
	global_load_dwordx2 v[110:111], v[110:111], off offset:32
	v_sub_nc_u32_e32 v49, 0, v94
	v_sub_nc_u32_e32 v47, 0, v93
	v_mad_u64_u32 v[93:94], null, s4, v3, 0
	ds_read2_b32 v[3:4], v95 offset0:104 offset1:212
	ds_read2_b32 v[5:6], v96 offset0:32 offset1:140
	;; [unrolled: 1-line block ×12, first 2 shown]
	v_add_nc_u32_e32 v49, v50, v49
	v_add_nc_u32_e32 v0, v0, v47
	;; [unrolled: 1-line block ×3, first 2 shown]
	ds_read_b32 v48, v86
	ds_read_b32 v50, v85
	;; [unrolled: 1-line block ×3, first 2 shown]
	v_add3_u32 v94, v94, v120, v79
	ds_read_b32 v49, v49
	ds_read_b32 v0, v0
	;; [unrolled: 1-line block ×3, first 2 shown]
	s_waitcnt vmcnt(14) lgkmcnt(15)
	v_mul_f32_e32 v47, v46, v95
	v_mul_f32_e32 v95, v45, v95
	s_waitcnt vmcnt(13)
	v_mul_f32_e32 v99, v54, v4
	v_mul_f32_e32 v121, v53, v4
	s_waitcnt lgkmcnt(14)
	v_mul_f32_e32 v86, v56, v87
	v_fma_f32 v124, v15, v45, -v47
	s_waitcnt vmcnt(12)
	v_mul_f32_e32 v120, v78, v6
	v_mul_f32_e32 v122, v77, v6
	s_waitcnt vmcnt(11)
	v_mul_f32_e32 v4, v60, v3
	s_waitcnt vmcnt(10)
	v_mul_f32_e32 v6, v64, v5
	v_mul_f32_e32 v3, v59, v3
	;; [unrolled: 1-line block ×3, first 2 shown]
	s_waitcnt lgkmcnt(13)
	v_mul_f32_e32 v51, v58, v113
	s_waitcnt lgkmcnt(12)
	v_mul_f32_e32 v52, v62, v98
	s_waitcnt vmcnt(9) lgkmcnt(11)
	v_mul_f32_e32 v123, v40, v115
	v_mul_f32_e32 v98, v61, v98
	;; [unrolled: 1-line block ×4, first 2 shown]
	v_fmac_f32_e32 v95, v15, v46
	v_fma_f32 v4, v9, v59, -v4
	v_fma_f32 v6, v11, v63, -v6
	v_fmac_f32_e32 v3, v9, v60
	v_fmac_f32_e32 v5, v11, v64
	v_fma_f32 v9, v26, v57, -v51
	v_fma_f32 v11, v28, v61, -v52
	;; [unrolled: 1-line block ×3, first 2 shown]
	v_fmac_f32_e32 v98, v28, v62
	v_fmac_f32_e32 v115, v30, v40
	;; [unrolled: 1-line block ×3, first 2 shown]
	s_waitcnt vmcnt(8) lgkmcnt(10)
	v_mul_f32_e32 v26, v68, v117
	s_waitcnt vmcnt(7) lgkmcnt(9)
	v_mul_f32_e32 v28, v72, v90
	v_mul_f32_e32 v30, v67, v117
	;; [unrolled: 1-line block ×5, first 2 shown]
	s_waitcnt vmcnt(6)
	v_mul_f32_e32 v46, v37, v114
	v_mul_f32_e32 v47, v69, v97
	;; [unrolled: 1-line block ×4, first 2 shown]
	v_sub_f32_e32 v57, v4, v6
	v_add_f32_e32 v58, v3, v5
	v_add_f32_e32 v59, v11, v15
	v_sub_f32_e32 v61, v11, v15
	v_add_f32_e32 v62, v98, v115
	s_waitcnt lgkmcnt(2)
	v_add_f32_e32 v63, v3, v49
	v_add_f32_e32 v64, v113, v98
	;; [unrolled: 1-line block ×5, first 2 shown]
	v_fma_f32 v26, v22, v67, -v26
	v_fma_f32 v28, v24, v71, -v28
	v_fmac_f32_e32 v30, v22, v68
	v_fmac_f32_e32 v39, v24, v72
	v_fma_f32 v22, v25, v65, -v40
	v_fma_f32 v24, v27, v69, -v45
	;; [unrolled: 1-line block ×3, first 2 shown]
	v_fmac_f32_e32 v47, v27, v70
	v_fmac_f32_e32 v51, v29, v37
	;; [unrolled: 1-line block ×3, first 2 shown]
	s_waitcnt vmcnt(5)
	v_mul_f32_e32 v25, v76, v116
	s_waitcnt vmcnt(4)
	v_mul_f32_e32 v27, v103, v89
	v_mul_f32_e32 v29, v75, v116
	;; [unrolled: 1-line block ×5, first 2 shown]
	s_waitcnt vmcnt(3)
	v_mul_f32_e32 v46, v109, v92
	v_mul_f32_e32 v34, v73, v34
	v_sub_f32_e32 v60, v98, v115
	v_sub_f32_e32 v3, v3, v5
	v_mul_f32_e32 v65, v100, v119
	v_mul_f32_e32 v66, v108, v92
	v_fma_f32 v49, -0.5, v58, v49
	v_fma_f32 v9, -0.5, v59, v9
	;; [unrolled: 1-line block ×3, first 2 shown]
	v_add_f32_e32 v5, v5, v63
	v_add_f32_e32 v59, v64, v115
	v_fma_f32 v38, -0.5, v90, v38
	v_add_f32_e32 v62, v4, v6
	v_add_f32_e32 v11, v11, v15
	;; [unrolled: 1-line block ×4, first 2 shown]
	v_fma_f32 v25, v21, v75, -v25
	v_fma_f32 v72, v23, v102, -v27
	v_fmac_f32_e32 v29, v21, v76
	v_fmac_f32_e32 v37, v23, v103
	v_fma_f32 v21, v14, v73, -v40
	v_fma_f32 v23, v18, v100, -v45
	;; [unrolled: 1-line block ×3, first 2 shown]
	v_fmac_f32_e32 v34, v14, v74
	s_waitcnt vmcnt(1)
	v_mul_f32_e32 v74, v104, v118
	s_waitcnt vmcnt(0)
	v_mul_f32_e32 v75, v110, v91
	v_sub_f32_e32 v15, v26, v28
	v_add_f32_e32 v63, v30, v39
	v_sub_f32_e32 v67, v47, v51
	v_sub_f32_e32 v68, v24, v36
	s_waitcnt lgkmcnt(1)
	v_add_f32_e32 v70, v30, v0
	v_add_f32_e32 v47, v52, v47
	;; [unrolled: 1-line block ×5, first 2 shown]
	v_fmac_f32_e32 v65, v18, v101
	v_fmac_f32_e32 v66, v20, v109
	v_mul_f32_e32 v14, v84, v96
	v_mul_f32_e32 v18, v107, v88
	;; [unrolled: 1-line block ×8, first 2 shown]
	v_fmamk_f32 v76, v57, 0x3f5db3d7, v49
	v_fmamk_f32 v88, v60, 0xbf5db3d7, v9
	;; [unrolled: 1-line block ×3, first 2 shown]
	v_fmac_f32_e32 v49, 0xbf5db3d7, v57
	v_fmac_f32_e32 v58, 0xbf5db3d7, v61
	;; [unrolled: 1-line block ×3, first 2 shown]
	v_sub_f32_e32 v4, v5, v59
	v_fmamk_f32 v57, v3, 0xbf5db3d7, v38
	v_fmac_f32_e32 v38, 0x3f5db3d7, v3
	v_sub_f32_e32 v3, v62, v11
	v_add_f32_e32 v6, v5, v59
	v_add_f32_e32 v5, v62, v11
	v_fma_f32 v11, -0.5, v64, v22
	v_fma_f32 v22, -0.5, v69, v52
	v_add_f32_e32 v52, v23, v40
	v_sub_f32_e32 v60, v23, v40
	v_add_f32_e32 v23, v21, v23
	v_fmac_f32_e32 v74, v17, v105
	v_fmac_f32_e32 v75, v19, v111
	v_sub_f32_e32 v30, v30, v39
	v_fma_f32 v0, -0.5, v63, v0
	v_add_f32_e32 v39, v39, v70
	v_add_f32_e32 v47, v47, v51
	v_fma_f32 v51, -0.5, v71, v32
	v_add_f32_e32 v26, v26, v28
	v_add_f32_e32 v24, v24, v36
	v_sub_f32_e32 v32, v25, v72
	v_add_f32_e32 v36, v29, v37
	v_sub_f32_e32 v59, v65, v66
	v_add_f32_e32 v61, v65, v66
	v_add_f32_e32 v62, v29, v48
	;; [unrolled: 1-line block ×5, first 2 shown]
	v_fma_f32 v14, v16, v83, -v14
	v_fma_f32 v18, v8, v106, -v18
	v_fmac_f32_e32 v45, v16, v84
	v_fmac_f32_e32 v73, v8, v107
	v_fma_f32 v8, v13, v81, -v20
	v_fma_f32 v16, v17, v104, -v27
	;; [unrolled: 1-line block ×3, first 2 shown]
	v_fmac_f32_e32 v33, v13, v82
	v_mul_f32_e32 v17, -0.5, v89
	v_mul_f32_e32 v71, 0x3f5db3d7, v58
	v_fmamk_f32 v82, v67, 0xbf5db3d7, v11
	v_fmac_f32_e32 v11, 0x3f5db3d7, v67
	v_add_f32_e32 v23, v23, v40
	v_add_f32_e32 v40, v74, v75
	v_sub_f32_e32 v29, v29, v37
	v_mul_f32_e32 v69, 0xbf5db3d7, v9
	v_mul_f32_e32 v70, -0.5, v88
	v_fmamk_f32 v81, v15, 0x3f5db3d7, v0
	v_fmamk_f32 v83, v68, 0x3f5db3d7, v22
	v_fmac_f32_e32 v0, 0xbf5db3d7, v15
	v_fmac_f32_e32 v22, 0xbf5db3d7, v68
	v_sub_f32_e32 v20, v39, v47
	v_sub_f32_e32 v19, v26, v24
	v_add_f32_e32 v28, v39, v47
	v_add_f32_e32 v27, v26, v24
	v_fma_f32 v39, -0.5, v36, v48
	v_fma_f32 v36, -0.5, v52, v21
	;; [unrolled: 1-line block ×3, first 2 shown]
	v_add_f32_e32 v13, v37, v62
	v_add_f32_e32 v15, v63, v66
	v_add_f32_e32 v21, v25, v72
	v_add_f32_e32 v25, v45, v73
	v_add_f32_e32 v26, v16, v65
	v_sub_f32_e32 v37, v16, v65
	v_add_f32_e32 v16, v8, v16
	v_fmac_f32_e32 v17, 0xbf5db3d7, v88
	v_fmac_f32_e32 v71, 0.5, v9
	v_mul_f32_e32 v63, 0xbf5db3d7, v11
	v_fma_f32 v84, -0.5, v40, v33
	v_fmamk_f32 v67, v30, 0xbf5db3d7, v51
	v_fmac_f32_e32 v51, 0x3f5db3d7, v30
	v_sub_f32_e32 v24, v14, v18
	v_sub_f32_e32 v30, v74, v75
	v_add_f32_e32 v47, v45, v50
	v_add_f32_e32 v48, v33, v74
	;; [unrolled: 1-line block ×4, first 2 shown]
	v_fmac_f32_e32 v69, 0.5, v58
	v_fmac_f32_e32 v70, 0x3f5db3d7, v89
	v_mul_f32_e32 v66, 0x3f5db3d7, v22
	v_fmamk_f32 v68, v32, 0x3f5db3d7, v39
	v_fmamk_f32 v74, v60, 0x3f5db3d7, v34
	v_fmac_f32_e32 v39, 0xbf5db3d7, v32
	v_fmac_f32_e32 v34, 0xbf5db3d7, v60
	v_sub_f32_e32 v32, v13, v15
	v_add_f32_e32 v46, v13, v15
	v_fma_f32 v60, -0.5, v25, v50
	v_fma_f32 v50, -0.5, v26, v8
	v_add_f32_e32 v65, v16, v65
	v_sub_f32_e32 v9, v76, v17
	v_sub_f32_e32 v13, v38, v71
	v_add_f32_e32 v16, v76, v17
	v_add_f32_e32 v17, v38, v71
	v_fmac_f32_e32 v63, 0.5, v22
	v_fmamk_f32 v71, v37, 0x3f5db3d7, v84
	v_mul_f32_e32 v58, -0.5, v83
	v_fmamk_f32 v72, v59, 0xbf5db3d7, v36
	v_fmac_f32_e32 v36, 0x3f5db3d7, v59
	v_add_f32_e32 v88, v14, v18
	v_sub_f32_e32 v14, v49, v69
	v_sub_f32_e32 v8, v57, v70
	v_add_f32_e32 v18, v49, v69
	v_add_f32_e32 v15, v57, v70
	v_fmac_f32_e32 v66, 0.5, v11
	v_mul_f32_e32 v11, -0.5, v74
	v_fmamk_f32 v69, v24, 0x3f5db3d7, v60
	v_fmamk_f32 v70, v30, 0xbf5db3d7, v50
	v_fmac_f32_e32 v60, 0xbf5db3d7, v24
	v_fmac_f32_e32 v84, 0xbf5db3d7, v37
	;; [unrolled: 1-line block ×3, first 2 shown]
	v_sub_f32_e32 v24, v0, v63
	v_add_f32_e32 v30, v0, v63
	v_mul_f32_e32 v0, -0.5, v71
	v_fmac_f32_e32 v58, 0xbf5db3d7, v82
	v_mul_f32_e32 v40, 0xbf5db3d7, v36
	v_fmac_f32_e32 v11, 0xbf5db3d7, v72
	v_mul_f32_e32 v63, 0x3f5db3d7, v84
	v_fmac_f32_e32 v0, 0xbf5db3d7, v70
	v_sub_f32_e32 v62, v45, v73
	v_fma_f32 v61, -0.5, v61, v35
	v_fma_f32 v52, -0.5, v64, v31
	v_mul_f32_e32 v57, 0x3f5db3d7, v34
	v_sub_f32_e32 v22, v81, v58
	v_add_f32_e32 v26, v81, v58
	v_fmac_f32_e32 v40, 0.5, v34
	v_mul_f32_e32 v58, 0xbf5db3d7, v50
	v_sub_f32_e32 v34, v68, v11
	v_add_f32_e32 v38, v68, v11
	v_fmac_f32_e32 v63, 0.5, v50
	v_sub_f32_e32 v50, v69, v0
	v_add_f32_e32 v11, v69, v0
	v_fmac_f32_e32 v121, v10, v54
	s_waitcnt lgkmcnt(0)
	v_mul_f32_e32 v0, v43, v79
	v_fmac_f32_e32 v122, v12, v78
	v_mul_f32_e32 v87, v55, v87
	v_fmamk_f32 v76, v62, 0xbf5db3d7, v61
	v_fmac_f32_e32 v61, 0x3f5db3d7, v62
	v_fmamk_f32 v59, v29, 0xbf5db3d7, v52
	v_fmac_f32_e32 v52, 0x3f5db3d7, v29
	v_mul_f32_e32 v49, -0.5, v72
	v_fmac_f32_e32 v57, 0.5, v36
	v_fmac_f32_e32 v58, 0.5, v84
	v_mul_f32_e32 v54, v44, v79
	v_fma_f32 v53, v10, v53, -v99
	v_fma_f32 v12, v12, v77, -v120
	v_fmac_f32_e32 v0, v42, v44
	v_add_f32_e32 v10, v121, v122
	v_sub_f32_e32 v31, v21, v23
	v_add_f32_e32 v45, v21, v23
	v_sub_f32_e32 v23, v51, v66
	;; [unrolled: 2-line block ×3, first 2 shown]
	v_fmac_f32_e32 v87, v7, v56
	v_add_f32_e32 v56, v61, v63
	v_mul_hi_u32 v61, 0xf2b9d649, v80
	v_mul_f32_e32 v64, -0.5, v82
	v_fmac_f32_e32 v49, 0x3f5db3d7, v74
	v_sub_f32_e32 v36, v39, v40
	v_sub_f32_e32 v35, v52, v57
	v_add_f32_e32 v40, v39, v40
	v_add_f32_e32 v39, v52, v57
	v_sub_f32_e32 v52, v60, v58
	v_add_f32_e32 v57, v60, v58
	v_fma_f32 v44, v42, v43, -v54
	v_add_f32_e32 v42, v53, v12
	v_sub_f32_e32 v54, v53, v12
	v_fma_f32 v58, -0.5, v10, v0
	v_fmac_f32_e32 v64, 0x3f5db3d7, v83
	v_mul_f32_e32 v62, -0.5, v70
	v_sub_f32_e32 v33, v59, v49
	v_add_f32_e32 v37, v59, v49
	v_fma_f32 v7, v7, v55, -v86
	v_fma_f32 v55, -0.5, v42, v44
	v_sub_f32_e32 v42, v121, v122
	v_fmamk_f32 v59, v54, 0x3f5db3d7, v58
	v_add_f32_e32 v0, v0, v121
	v_lshrrev_b32_e32 v61, 9, v61
	v_sub_f32_e32 v21, v67, v64
	v_add_f32_e32 v25, v67, v64
	v_fmac_f32_e32 v62, 0x3f5db3d7, v71
	v_fmamk_f32 v66, v42, 0xbf5db3d7, v55
	v_mul_f32_e32 v67, -0.5, v59
	v_fmac_f32_e32 v55, 0x3f5db3d7, v42
	v_add_f32_e32 v71, v0, v122
	v_mul_u32_u24_e32 v0, 0x21c, v61
	v_add_f32_e32 v10, v95, v87
	v_fmac_f32_e32 v67, 0xbf5db3d7, v66
	v_fmac_f32_e32 v58, 0xbf5db3d7, v54
	v_mul_f32_e32 v69, 0xbf5db3d7, v55
	v_mul_f32_e32 v66, -0.5, v66
	v_sub_nc_u32_e32 v78, v80, v0
	v_sub_f32_e32 v60, v124, v7
	v_fma_f32 v64, -0.5, v10, v85
	v_sub_f32_e32 v49, v76, v62
	v_add_f32_e32 v10, v76, v62
	v_add_f32_e32 v62, v124, v7
	v_fmac_f32_e32 v69, 0.5, v58
	v_fmac_f32_e32 v66, 0x3f5db3d7, v59
	v_mul_f32_e32 v74, 0x3f5db3d7, v58
	v_mad_u64_u32 v[58:59], null, s2, v78, 0
	v_fmamk_f32 v68, v60, 0x3f5db3d7, v64
	v_fmac_f32_e32 v64, 0xbf5db3d7, v60
	v_add_f32_e32 v60, v95, v85
	v_add_f32_e32 v0, v41, v124
	;; [unrolled: 1-line block ×4, first 2 shown]
	v_fma_f32 v72, -0.5, v62, v41
	v_sub_f32_e32 v62, v95, v87
	v_add_f32_e32 v41, v44, v53
	v_add_f32_e32 v70, v87, v60
	;; [unrolled: 1-line block ×3, first 2 shown]
	v_mov_b32_e32 v0, v59
	v_sub_f32_e32 v48, v73, v75
	v_add_f32_e32 v43, v73, v75
	v_fmamk_f32 v73, v62, 0xbf5db3d7, v72
	v_fmac_f32_e32 v72, 0x3f5db3d7, v62
	v_fmac_f32_e32 v74, 0.5, v55
	v_add_f32_e32 v12, v41, v12
	v_add_nc_u32_e32 v41, 0x21c, v78
	v_sub_f32_e32 v47, v88, v65
	v_add_f32_e32 v42, v88, v65
	v_sub_f32_e32 v54, v68, v67
	v_sub_f32_e32 v61, v64, v69
	;; [unrolled: 1-line block ×3, first 2 shown]
	v_add_f32_e32 v65, v68, v67
	v_add_f32_e32 v67, v64, v69
	;; [unrolled: 1-line block ×3, first 2 shown]
	v_mad_u64_u32 v[70:71], null, s3, v78, v[0:1]
	v_sub_f32_e32 v53, v73, v66
	v_sub_f32_e32 v60, v72, v74
	v_add_f32_e32 v64, v73, v66
	v_add_f32_e32 v66, v72, v74
	v_mad_u64_u32 v[73:74], null, s2, v41, 0
	v_lshlrev_b64 v[71:72], 3, v[93:94]
	v_sub_f32_e32 v62, v7, v12
	v_add_f32_e32 v68, v7, v12
	v_add_nc_u32_e32 v7, 0x438, v78
	v_mov_b32_e32 v59, v70
	v_lshlrev_b64 v[1:2], 3, v[1:2]
	v_add_co_u32 v12, vcc_lo, s10, v71
	v_mad_u64_u32 v[70:71], null, s2, v7, 0
	v_mov_b32_e32 v0, v74
	v_add_co_ci_u32_e32 v44, vcc_lo, s11, v72, vcc_lo
	v_lshlrev_b64 v[58:59], 3, v[58:59]
	v_mad_u64_u32 v[74:75], null, s3, v41, v[0:1]
	v_add_co_u32 v0, vcc_lo, v12, v1
	v_add_co_ci_u32_e32 v1, vcc_lo, v44, v2, vcc_lo
	v_add_nc_u32_e32 v12, 0x654, v78
	v_mov_b32_e32 v2, v71
	v_add_nc_u32_e32 v44, 0xa8c, v78
	v_add_co_u32 v58, vcc_lo, v0, v58
	v_mad_u64_u32 v[75:76], null, s2, v12, 0
	v_mad_u64_u32 v[71:72], null, s3, v7, v[2:3]
	v_add_nc_u32_e32 v7, 0x6c, v80
	v_mad_u64_u32 v[81:82], null, s2, v44, 0
	v_lshlrev_b64 v[72:73], 3, v[73:74]
	v_mov_b32_e32 v2, v76
	v_mul_hi_u32 v41, 0xf2b9d649, v7
	v_lshlrev_b64 v[70:71], 3, v[70:71]
	v_add_co_ci_u32_e32 v59, vcc_lo, v1, v59, vcc_lo
	v_mad_u64_u32 v[76:77], null, s3, v12, v[2:3]
	v_add_co_u32 v72, vcc_lo, v0, v72
	v_lshrrev_b32_e32 v12, 9, v41
	v_add_nc_u32_e32 v41, 0x870, v78
	v_add_co_ci_u32_e32 v73, vcc_lo, v1, v73, vcc_lo
	v_lshlrev_b64 v[74:75], 3, v[75:76]
	v_mul_u32_u24_e32 v2, 0x21c, v12
	v_mad_u64_u32 v[77:78], null, s2, v41, 0
	v_add_co_u32 v70, vcc_lo, v0, v70
	v_sub_nc_u32_e32 v55, v7, v2
	v_mov_b32_e32 v7, v82
	v_add_co_ci_u32_e32 v71, vcc_lo, v1, v71, vcc_lo
	v_mov_b32_e32 v2, v78
	v_mad_u32_u24 v12, 0xca8, v12, v55
	v_mad_u64_u32 v[82:83], null, s3, v44, v[7:8]
	v_add_co_u32 v74, vcc_lo, v0, v74
	v_mad_u64_u32 v[83:84], null, s2, v12, 0
	v_mad_u64_u32 v[78:79], null, s3, v41, v[2:3]
	v_add_co_ci_u32_e32 v75, vcc_lo, v1, v75, vcc_lo
	v_add_nc_u32_e32 v7, 0x21c, v12
	global_store_dwordx2 v[58:59], v[68:69], off
	global_store_dwordx2 v[72:73], v[66:67], off
	;; [unrolled: 1-line block ×4, first 2 shown]
	v_mov_b32_e32 v2, v84
	v_add_nc_u32_e32 v41, 0x438, v12
	v_lshlrev_b64 v[58:59], 3, v[77:78]
	v_mad_u64_u32 v[65:66], null, s2, v7, 0
	v_mad_u64_u32 v[62:63], null, s3, v12, v[2:3]
	v_lshlrev_b64 v[63:64], 3, v[81:82]
	v_add_nc_u32_e32 v55, 0xd8, v80
	v_add_co_u32 v58, vcc_lo, v0, v58
	v_mov_b32_e32 v2, v66
	v_mad_u64_u32 v[68:69], null, s2, v41, 0
	v_mov_b32_e32 v84, v62
	v_add_co_ci_u32_e32 v59, vcc_lo, v1, v59, vcc_lo
	v_add_co_u32 v62, vcc_lo, v0, v63
	v_lshlrev_b64 v[66:67], 3, v[83:84]
	v_mad_u64_u32 v[70:71], null, s3, v7, v[2:3]
	v_add_nc_u32_e32 v7, 0x654, v12
	v_mul_hi_u32 v44, 0xf2b9d649, v55
	v_add_co_ci_u32_e32 v63, vcc_lo, v1, v64, vcc_lo
	v_add_co_u32 v71, vcc_lo, v0, v66
	v_add_co_ci_u32_e32 v72, vcc_lo, v1, v67, vcc_lo
	v_mov_b32_e32 v2, v69
	v_mad_u64_u32 v[73:74], null, s2, v7, 0
	global_store_dwordx2 v[58:59], v[60:61], off
	global_store_dwordx2 v[62:63], v[53:54], off
	;; [unrolled: 1-line block ×3, first 2 shown]
	v_lshrrev_b32_e32 v60, 9, v44
	v_mad_u64_u32 v[75:76], null, s3, v41, v[2:3]
	v_add_nc_u32_e32 v62, 0x870, v12
	v_add_nc_u32_e32 v12, 0xa8c, v12
	v_mov_b32_e32 v2, v74
	v_mul_u32_u24_e32 v58, 0x21c, v60
	v_mov_b32_e32 v66, v70
	v_mad_u64_u32 v[53:54], null, s2, v62, 0
	v_mov_b32_e32 v69, v75
	v_mad_u64_u32 v[43:44], null, s3, v7, v[2:3]
	v_sub_nc_u32_e32 v2, v55, v58
	v_lshlrev_b64 v[41:42], 3, v[65:66]
	v_lshlrev_b64 v[58:59], 3, v[68:69]
	v_mad_u32_u24 v68, 0xca8, v60, v2
	v_mov_b32_e32 v74, v43
	v_mad_u64_u32 v[43:44], null, s2, v12, 0
	v_mov_b32_e32 v2, v54
	v_mad_u64_u32 v[60:61], null, s2, v68, 0
	v_add_co_u32 v41, vcc_lo, v0, v41
	v_lshlrev_b64 v[54:55], 3, v[73:74]
	v_mad_u64_u32 v[62:63], null, s3, v62, v[2:3]
	v_mov_b32_e32 v2, v44
	v_mov_b32_e32 v7, v61
	v_add_co_ci_u32_e32 v42, vcc_lo, v1, v42, vcc_lo
	v_add_co_u32 v58, vcc_lo, v0, v58
	v_add_co_ci_u32_e32 v59, vcc_lo, v1, v59, vcc_lo
	v_mad_u64_u32 v[65:66], null, s3, v12, v[2:3]
	v_add_co_u32 v63, vcc_lo, v0, v54
	v_mad_u64_u32 v[66:67], null, s3, v68, v[7:8]
	v_add_nc_u32_e32 v7, 0x21c, v68
	v_add_co_ci_u32_e32 v64, vcc_lo, v1, v55, vcc_lo
	global_store_dwordx2 v[41:42], v[56:57], off
	global_store_dwordx2 v[58:59], v[10:11], off
	global_store_dwordx2 v[63:64], v[47:48], off
	v_mad_u64_u32 v[41:42], null, s2, v7, 0
	v_mov_b32_e32 v54, v62
	v_add_nc_u32_e32 v12, 0x438, v68
	v_mov_b32_e32 v44, v65
	v_mov_b32_e32 v61, v66
	v_lshlrev_b64 v[10:11], 3, v[53:54]
	v_mov_b32_e32 v2, v42
	v_mad_u64_u32 v[53:54], null, s2, v12, 0
	v_lshlrev_b64 v[43:44], 3, v[43:44]
	v_lshlrev_b64 v[47:48], 3, v[60:61]
	v_mad_u64_u32 v[55:56], null, s3, v7, v[2:3]
	v_add_co_u32 v10, vcc_lo, v0, v10
	v_add_co_ci_u32_e32 v11, vcc_lo, v1, v11, vcc_lo
	v_mov_b32_e32 v2, v54
	v_add_co_u32 v43, vcc_lo, v0, v43
	v_add_co_ci_u32_e32 v44, vcc_lo, v1, v44, vcc_lo
	v_add_co_u32 v47, vcc_lo, v0, v47
	v_mov_b32_e32 v42, v55
	v_add_nc_u32_e32 v7, 0x654, v68
	v_mad_u64_u32 v[56:57], null, s3, v12, v[2:3]
	v_add_nc_u32_e32 v12, 0x144, v80
	v_add_co_ci_u32_e32 v48, vcc_lo, v1, v48, vcc_lo
	global_store_dwordx2 v[10:11], v[51:52], off
	v_lshlrev_b64 v[10:11], 3, v[41:42]
	v_mad_u64_u32 v[41:42], null, s2, v7, 0
	global_store_dwordx2 v[43:44], v[49:50], off
	global_store_dwordx2 v[47:48], v[45:46], off
	v_mul_hi_u32 v45, 0xf2b9d649, v12
	v_add_nc_u32_e32 v50, 0x870, v68
	v_mov_b32_e32 v54, v56
	v_add_co_u32 v10, vcc_lo, v0, v10
	v_mov_b32_e32 v2, v42
	v_add_co_ci_u32_e32 v11, vcc_lo, v1, v11, vcc_lo
	v_lshrrev_b32_e32 v51, 9, v45
	v_mad_u64_u32 v[45:46], null, s2, v50, 0
	v_mad_u64_u32 v[47:48], null, s3, v7, v[2:3]
	v_add_nc_u32_e32 v7, 0xa8c, v68
	v_mul_u32_u24_e32 v42, 0x21c, v51
	v_lshlrev_b64 v[43:44], 3, v[53:54]
	global_store_dwordx2 v[10:11], v[39:40], off
	v_mov_b32_e32 v2, v46
	v_mad_u64_u32 v[48:49], null, s2, v7, 0
	v_sub_nc_u32_e32 v12, v12, v42
	v_add_co_u32 v43, vcc_lo, v0, v43
	v_add_co_ci_u32_e32 v44, vcc_lo, v1, v44, vcc_lo
	v_mad_u32_u24 v12, 0xca8, v51, v12
	v_mov_b32_e32 v42, v47
	v_mad_u64_u32 v[46:47], null, s3, v50, v[2:3]
	v_mov_b32_e32 v2, v49
	global_store_dwordx2 v[43:44], v[37:38], off
	v_mad_u64_u32 v[37:38], null, s2, v12, 0
	v_lshlrev_b64 v[10:11], 3, v[41:42]
	v_mad_u64_u32 v[39:40], null, s3, v7, v[2:3]
	v_add_nc_u32_e32 v7, 0x21c, v12
	v_lshlrev_b64 v[40:41], 3, v[45:46]
	v_add_nc_u32_e32 v44, 0x438, v12
	v_mov_b32_e32 v2, v38
	v_add_co_u32 v10, vcc_lo, v0, v10
	v_mad_u64_u32 v[42:43], null, s2, v7, 0
	v_add_co_ci_u32_e32 v11, vcc_lo, v1, v11, vcc_lo
	v_mov_b32_e32 v49, v39
	v_mad_u64_u32 v[38:39], null, s3, v12, v[2:3]
	global_store_dwordx2 v[10:11], v[31:32], off
	v_mov_b32_e32 v2, v43
	v_lshlrev_b64 v[10:11], 3, v[48:49]
	v_add_co_u32 v31, vcc_lo, v0, v40
	v_add_co_ci_u32_e32 v32, vcc_lo, v1, v41, vcc_lo
	v_mad_u64_u32 v[39:40], null, s3, v7, v[2:3]
	v_lshlrev_b64 v[37:38], 3, v[37:38]
	v_mad_u64_u32 v[40:41], null, s2, v44, 0
	v_add_co_u32 v10, vcc_lo, v0, v10
	v_add_co_ci_u32_e32 v11, vcc_lo, v1, v11, vcc_lo
	v_add_co_u32 v37, vcc_lo, v0, v37
	v_add_nc_u32_e32 v7, 0x654, v12
	v_add_co_ci_u32_e32 v38, vcc_lo, v1, v38, vcc_lo
	v_mov_b32_e32 v2, v41
	global_store_dwordx2 v[31:32], v[35:36], off
	v_mov_b32_e32 v43, v39
	v_mad_u64_u32 v[31:32], null, s2, v7, 0
	v_add_nc_u32_e32 v35, 0x1b0, v80
	global_store_dwordx2 v[10:11], v[33:34], off
	global_store_dwordx2 v[37:38], v[27:28], off
	v_mad_u64_u32 v[27:28], null, s3, v44, v[2:3]
	v_add_nc_u32_e32 v36, 0x870, v12
	v_lshlrev_b64 v[10:11], 3, v[42:43]
	v_mul_hi_u32 v34, 0xf2b9d649, v35
	v_mov_b32_e32 v2, v32
	v_add_nc_u32_e32 v12, 0xa8c, v12
	v_mov_b32_e32 v41, v27
	v_mad_u64_u32 v[27:28], null, s2, v36, 0
	v_add_co_u32 v10, vcc_lo, v0, v10
	v_add_co_ci_u32_e32 v11, vcc_lo, v1, v11, vcc_lo
	v_mad_u64_u32 v[32:33], null, s3, v7, v[2:3]
	v_lshrrev_b32_e32 v7, 9, v34
	v_mov_b32_e32 v2, v28
	global_store_dwordx2 v[10:11], v[29:30], off
	v_mad_u64_u32 v[33:34], null, s2, v12, 0
	v_mul_u32_u24_e32 v30, 0x21c, v7
	v_mad_u64_u32 v[28:29], null, s3, v36, v[2:3]
	v_lshlrev_b64 v[10:11], 3, v[40:41]
	v_sub_nc_u32_e32 v29, v35, v30
	v_mov_b32_e32 v2, v34
	v_add_co_u32 v10, vcc_lo, v0, v10
	v_mad_u32_u24 v37, 0xca8, v7, v29
	v_lshlrev_b64 v[29:30], 3, v[31:32]
	v_mad_u64_u32 v[31:32], null, s3, v12, v[2:3]
	v_add_co_ci_u32_e32 v11, vcc_lo, v1, v11, vcc_lo
	v_mad_u64_u32 v[35:36], null, s2, v37, 0
	v_add_co_u32 v29, vcc_lo, v0, v29
	v_add_co_ci_u32_e32 v30, vcc_lo, v1, v30, vcc_lo
	v_mov_b32_e32 v34, v31
	global_store_dwordx2 v[10:11], v[25:26], off
	v_mov_b32_e32 v2, v36
	v_lshlrev_b64 v[10:11], 3, v[27:28]
	global_store_dwordx2 v[29:30], v[19:20], off
	v_lshlrev_b64 v[19:20], 3, v[33:34]
	v_add_nc_u32_e32 v12, 0x21c, v37
	v_mad_u64_u32 v[25:26], null, s3, v37, v[2:3]
	v_add_co_u32 v10, vcc_lo, v0, v10
	v_add_co_ci_u32_e32 v11, vcc_lo, v1, v11, vcc_lo
	v_add_co_u32 v19, vcc_lo, v0, v19
	v_add_co_ci_u32_e32 v20, vcc_lo, v1, v20, vcc_lo
	v_add_nc_u32_e32 v27, 0x438, v37
	v_mov_b32_e32 v36, v25
	v_mad_u64_u32 v[25:26], null, s2, v12, 0
	global_store_dwordx2 v[10:11], v[23:24], off
	global_store_dwordx2 v[19:20], v[21:22], off
	v_mad_u64_u32 v[19:20], null, s2, v27, 0
	v_add_nc_u32_e32 v30, 0x654, v37
	v_lshlrev_b64 v[10:11], 3, v[35:36]
	v_mov_b32_e32 v2, v26
	v_mad_u64_u32 v[21:22], null, s2, v30, 0
	v_mov_b32_e32 v7, v20
	v_mad_u64_u32 v[23:24], null, s3, v12, v[2:3]
	v_add_nc_u32_e32 v12, 0x870, v37
	v_add_co_u32 v10, vcc_lo, v0, v10
	v_mad_u64_u32 v[27:28], null, s3, v27, v[7:8]
	v_mad_u64_u32 v[28:29], null, s2, v12, 0
	v_add_nc_u32_e32 v7, 0xa8c, v37
	v_mov_b32_e32 v2, v22
	v_mov_b32_e32 v26, v23
	v_add_co_ci_u32_e32 v11, vcc_lo, v1, v11, vcc_lo
	v_mad_u64_u32 v[23:24], null, s2, v7, 0
	v_mad_u64_u32 v[30:31], null, s3, v30, v[2:3]
	v_mov_b32_e32 v2, v29
	global_store_dwordx2 v[10:11], v[5:6], off
	v_mov_b32_e32 v20, v27
	v_lshlrev_b64 v[5:6], 3, v[25:26]
	v_mad_u64_u32 v[10:11], null, s3, v12, v[2:3]
	v_mov_b32_e32 v2, v24
	v_mov_b32_e32 v22, v30
	v_lshlrev_b64 v[11:12], 3, v[19:20]
	v_add_co_u32 v5, vcc_lo, v0, v5
	v_mad_u64_u32 v[19:20], null, s3, v7, v[2:3]
	v_lshlrev_b64 v[20:21], 3, v[21:22]
	v_mov_b32_e32 v29, v10
	v_add_co_ci_u32_e32 v6, vcc_lo, v1, v6, vcc_lo
	v_add_co_u32 v10, vcc_lo, v0, v11
	v_mov_b32_e32 v24, v19
	v_add_co_ci_u32_e32 v11, vcc_lo, v1, v12, vcc_lo
	v_lshlrev_b64 v[25:26], 3, v[28:29]
	v_add_co_u32 v19, vcc_lo, v0, v20
	v_add_co_ci_u32_e32 v20, vcc_lo, v1, v21, vcc_lo
	v_lshlrev_b64 v[21:22], 3, v[23:24]
	v_add_co_u32 v23, vcc_lo, v0, v25
	v_add_co_ci_u32_e32 v24, vcc_lo, v1, v26, vcc_lo
	v_add_co_u32 v0, vcc_lo, v0, v21
	v_add_co_ci_u32_e32 v1, vcc_lo, v1, v22, vcc_lo
	global_store_dwordx2 v[5:6], v[17:18], off
	global_store_dwordx2 v[10:11], v[15:16], off
	;; [unrolled: 1-line block ×5, first 2 shown]
.LBB0_15:
	s_endpgm
	.section	.rodata,"a",@progbits
	.p2align	6, 0x0
	.amdhsa_kernel fft_rtc_fwd_len3240_factors_3_3_10_6_6_wgs_108_tpt_108_halfLds_sp_op_CI_CI_sbrr_dirReg
		.amdhsa_group_segment_fixed_size 0
		.amdhsa_private_segment_fixed_size 0
		.amdhsa_kernarg_size 104
		.amdhsa_user_sgpr_count 6
		.amdhsa_user_sgpr_private_segment_buffer 1
		.amdhsa_user_sgpr_dispatch_ptr 0
		.amdhsa_user_sgpr_queue_ptr 0
		.amdhsa_user_sgpr_kernarg_segment_ptr 1
		.amdhsa_user_sgpr_dispatch_id 0
		.amdhsa_user_sgpr_flat_scratch_init 0
		.amdhsa_user_sgpr_private_segment_size 0
		.amdhsa_wavefront_size32 1
		.amdhsa_uses_dynamic_stack 0
		.amdhsa_system_sgpr_private_segment_wavefront_offset 0
		.amdhsa_system_sgpr_workgroup_id_x 1
		.amdhsa_system_sgpr_workgroup_id_y 0
		.amdhsa_system_sgpr_workgroup_id_z 0
		.amdhsa_system_sgpr_workgroup_info 0
		.amdhsa_system_vgpr_workitem_id 0
		.amdhsa_next_free_vgpr 154
		.amdhsa_next_free_sgpr 31
		.amdhsa_reserve_vcc 1
		.amdhsa_reserve_flat_scratch 0
		.amdhsa_float_round_mode_32 0
		.amdhsa_float_round_mode_16_64 0
		.amdhsa_float_denorm_mode_32 3
		.amdhsa_float_denorm_mode_16_64 3
		.amdhsa_dx10_clamp 1
		.amdhsa_ieee_mode 1
		.amdhsa_fp16_overflow 0
		.amdhsa_workgroup_processor_mode 1
		.amdhsa_memory_ordered 1
		.amdhsa_forward_progress 0
		.amdhsa_shared_vgpr_count 0
		.amdhsa_exception_fp_ieee_invalid_op 0
		.amdhsa_exception_fp_denorm_src 0
		.amdhsa_exception_fp_ieee_div_zero 0
		.amdhsa_exception_fp_ieee_overflow 0
		.amdhsa_exception_fp_ieee_underflow 0
		.amdhsa_exception_fp_ieee_inexact 0
		.amdhsa_exception_int_div_zero 0
	.end_amdhsa_kernel
	.text
.Lfunc_end0:
	.size	fft_rtc_fwd_len3240_factors_3_3_10_6_6_wgs_108_tpt_108_halfLds_sp_op_CI_CI_sbrr_dirReg, .Lfunc_end0-fft_rtc_fwd_len3240_factors_3_3_10_6_6_wgs_108_tpt_108_halfLds_sp_op_CI_CI_sbrr_dirReg
                                        ; -- End function
	.section	.AMDGPU.csdata,"",@progbits
; Kernel info:
; codeLenInByte = 19044
; NumSgprs: 33
; NumVgprs: 154
; ScratchSize: 0
; MemoryBound: 0
; FloatMode: 240
; IeeeMode: 1
; LDSByteSize: 0 bytes/workgroup (compile time only)
; SGPRBlocks: 4
; VGPRBlocks: 19
; NumSGPRsForWavesPerEU: 33
; NumVGPRsForWavesPerEU: 154
; Occupancy: 6
; WaveLimiterHint : 1
; COMPUTE_PGM_RSRC2:SCRATCH_EN: 0
; COMPUTE_PGM_RSRC2:USER_SGPR: 6
; COMPUTE_PGM_RSRC2:TRAP_HANDLER: 0
; COMPUTE_PGM_RSRC2:TGID_X_EN: 1
; COMPUTE_PGM_RSRC2:TGID_Y_EN: 0
; COMPUTE_PGM_RSRC2:TGID_Z_EN: 0
; COMPUTE_PGM_RSRC2:TIDIG_COMP_CNT: 0
	.text
	.p2alignl 6, 3214868480
	.fill 48, 4, 3214868480
	.type	__hip_cuid_8813fd7473decd41,@object ; @__hip_cuid_8813fd7473decd41
	.section	.bss,"aw",@nobits
	.globl	__hip_cuid_8813fd7473decd41
__hip_cuid_8813fd7473decd41:
	.byte	0                               ; 0x0
	.size	__hip_cuid_8813fd7473decd41, 1

	.ident	"AMD clang version 19.0.0git (https://github.com/RadeonOpenCompute/llvm-project roc-6.4.0 25133 c7fe45cf4b819c5991fe208aaa96edf142730f1d)"
	.section	".note.GNU-stack","",@progbits
	.addrsig
	.addrsig_sym __hip_cuid_8813fd7473decd41
	.amdgpu_metadata
---
amdhsa.kernels:
  - .args:
      - .actual_access:  read_only
        .address_space:  global
        .offset:         0
        .size:           8
        .value_kind:     global_buffer
      - .offset:         8
        .size:           8
        .value_kind:     by_value
      - .actual_access:  read_only
        .address_space:  global
        .offset:         16
        .size:           8
        .value_kind:     global_buffer
      - .actual_access:  read_only
        .address_space:  global
        .offset:         24
        .size:           8
        .value_kind:     global_buffer
      - .actual_access:  read_only
        .address_space:  global
        .offset:         32
        .size:           8
        .value_kind:     global_buffer
      - .offset:         40
        .size:           8
        .value_kind:     by_value
      - .actual_access:  read_only
        .address_space:  global
        .offset:         48
        .size:           8
        .value_kind:     global_buffer
      - .actual_access:  read_only
        .address_space:  global
        .offset:         56
        .size:           8
        .value_kind:     global_buffer
      - .offset:         64
        .size:           4
        .value_kind:     by_value
      - .actual_access:  read_only
        .address_space:  global
        .offset:         72
        .size:           8
        .value_kind:     global_buffer
      - .actual_access:  read_only
        .address_space:  global
        .offset:         80
        .size:           8
        .value_kind:     global_buffer
      - .actual_access:  read_only
        .address_space:  global
        .offset:         88
        .size:           8
        .value_kind:     global_buffer
      - .actual_access:  write_only
        .address_space:  global
        .offset:         96
        .size:           8
        .value_kind:     global_buffer
    .group_segment_fixed_size: 0
    .kernarg_segment_align: 8
    .kernarg_segment_size: 104
    .language:       OpenCL C
    .language_version:
      - 2
      - 0
    .max_flat_workgroup_size: 108
    .name:           fft_rtc_fwd_len3240_factors_3_3_10_6_6_wgs_108_tpt_108_halfLds_sp_op_CI_CI_sbrr_dirReg
    .private_segment_fixed_size: 0
    .sgpr_count:     33
    .sgpr_spill_count: 0
    .symbol:         fft_rtc_fwd_len3240_factors_3_3_10_6_6_wgs_108_tpt_108_halfLds_sp_op_CI_CI_sbrr_dirReg.kd
    .uniform_work_group_size: 1
    .uses_dynamic_stack: false
    .vgpr_count:     154
    .vgpr_spill_count: 0
    .wavefront_size: 32
    .workgroup_processor_mode: 1
amdhsa.target:   amdgcn-amd-amdhsa--gfx1030
amdhsa.version:
  - 1
  - 2
...

	.end_amdgpu_metadata
